;; amdgpu-corpus repo=ROCm/aiter kind=harvested arch=n/a opt=n/a

/root/src/amdgpu-assembly/repos/ROCm__aiter/hsa/gfx942/fmha_v3_fwd/MI308/fwd_hd128_bf16_causal_rtz_group.co:	file format elf64-amdgpu

Disassembly of section .text:

0000000000003300 <_ZN5aiter36fmha_fwd_hd128_bf16_causal_rtz_groupE>:
	s_and_b32 s1, s1, 0xffff                                   // 000000003300: 8601FF01 0000FFFF
	s_load_dwordx2 s[20:21], s[0:1], 0x0                       // 000000003308: C0060500 00000000
	s_load_dwordx2 s[8:9], s[0:1], 0x10                        // 000000003310: C0060200 00000010
	s_load_dwordx2 s[12:13], s[0:1], 0x20                      // 000000003318: C0060300 00000020
	s_load_dwordx2 s[16:17], s[0:1], 0x30                      // 000000003320: C0060400 00000030
	s_load_dwordx2 s[24:25], s[0:1], 0x40                      // 000000003328: C0060600 00000040
	s_load_dword s28, s[0:1], 0x50                             // 000000003330: C0020700 00000050
	s_load_dword s30, s[0:1], 0x60                             // 000000003338: C0020780 00000060
	s_load_dword s62, s[0:1], 0x70                             // 000000003340: C0020F80 00000070
	s_load_dword s31, s[0:1], 0x80                             // 000000003348: C00207C0 00000080
	s_load_dword s32, s[0:1], 0x90                             // 000000003350: C0020800 00000090
	s_load_dword s33, s[0:1], 0xa0                             // 000000003358: C0020840 000000A0
	s_load_dword s46, s[0:1], 0xb0                             // 000000003360: C0020B80 000000B0
	s_load_dword s61, s[0:1], 0xc0                             // 000000003368: C0020F40 000000C0
	s_load_dword s47, s[0:1], 0xd0                             // 000000003370: C0020BC0 000000D0
	s_load_dword s48, s[0:1], 0xe0                             // 000000003378: C0020C00 000000E0
	s_load_dword s34, s[0:1], 0xf0                             // 000000003380: C0020880 000000F0
	s_load_dword s37, s[0:1], 0x100                            // 000000003388: C0020940 00000100
	s_load_dword s7, s[0:1], 0x110                             // 000000003390: C00201C0 00000110
	s_load_dword s96, s[0:1], 0x140                            // 000000003398: C0021800 00000140
	s_load_dword s80, s[0:1], 0x150                            // 0000000033A0: C0021400 00000150
	s_load_dword s81, s[0:1], 0x160                            // 0000000033A8: C0021440 00000160
	s_load_dword s82, s[0:1], 0x170                            // 0000000033B0: C0021480 00000170
	s_load_dword s83, s[0:1], 0x180                            // 0000000033B8: C00214C0 00000180
	s_load_dword s84, s[0:1], 0x190                            // 0000000033C0: C0021500 00000190
	s_load_dword s85, s[0:1], 0x1a0                            // 0000000033C8: C0021540 000001A0
	s_load_dwordx2 s[76:77], s[0:1], 0x1b0                     // 0000000033D0: C0061300 000001B0
	s_load_dwordx2 s[78:79], s[0:1], 0x1c0                     // 0000000033D8: C0061380 000001C0
	s_load_dword s86, s[0:1], 0x1d0                            // 0000000033E0: C0021580 000001D0
	s_load_dwordx2 s[88:89], s[0:1], 0x1e0                     // 0000000033E8: C0061600 000001E0
	s_load_dwordx2 s[90:91], s[0:1], 0x1f0                     // 0000000033F0: C0061680 000001F0
	v_lshrrev_b32_e32 v1, 10, v0                               // 0000000033F8: 2002008A
	v_lshrrev_b32_e32 v2, 10, v1                               // 0000000033FC: 2004028A
	v_and_b32_e32 v2, 0x3ff, v2                                // 000000003400: 260404FF 000003FF
	v_and_b32_e32 v1, 0x3ff, v1                                // 000000003408: 260202FF 000003FF
	v_and_b32_e32 v0, 0x3ff, v0                                // 000000003410: 260000FF 000003FF
	v_lshrrev_b32_e32 v3, 6, v0                                // 000000003418: 20060086
	v_and_b32_e32 v0, 63, v0                                   // 00000000341C: 260000BF
	s_mov_b32 s2, s2                                           // 000000003420: BE820002
	s_mov_b32 s3, s3                                           // 000000003424: BE830003
	s_mov_b32 s4, s4                                           // 000000003428: BE840004
	v_readfirstlane_b32 s5, v3                                 // 00000000342C: 7E0A0503
	s_waitcnt lgkmcnt(0)                                       // 000000003430: BF8CC07F
	s_and_b32 s34, s34, 1                                      // 000000003434: 86228122
	s_nop 1                                                    // 000000003438: BF800001
	s_and_b32 s77, s77, 0xffff                                 // 00000000343C: 864DFF4D 0000FFFF
	s_and_b32 s79, s79, 0xffff                                 // 000000003444: 864FFF4F 0000FFFF
	s_and_b32 s89, s89, 0xffff                                 // 00000000344C: 8659FF59 0000FFFF
	s_and_b32 s91, s91, 0xffff                                 // 000000003454: 865BFF5B 0000FFFF
	s_mul_i32 s40, s3, 4                                       // 00000000345C: 92288403
	s_load_dword s92, s[88:89], s40                            // 000000003460: C000172C 00000028
	s_load_dword s93, s[90:91], s40                            // 000000003468: C000176D 00000028
	s_load_dword s41, s[76:77], s40                            // 000000003470: C0000A66 00000028
	s_load_dword s42, s[78:79], s40                            // 000000003478: C0000AA7 00000028
	s_add_u32 s40, s40, 4                                      // 000000003480: 80288428
	s_load_dword s94, s[76:77], s40                            // 000000003484: C00017A6 00000028
	s_load_dword s95, s[78:79], s40                            // 00000000348C: C00017E7 00000028
	s_waitcnt lgkmcnt(0)                                       // 000000003494: BF8CC07F
	s_sub_u32 s30, s94, s41                                    // 000000003498: 809E295E
	s_sub_u32 s7, s95, s42                                     // 00000000349C: 80872A5F
	s_mov_b32 s34, 0                                           // 0000000034A0: BEA20080
	s_nop 0                                                    // 0000000034A4: BF800000
	s_lshr_b32 s40, s34, 1                                     // 0000000034A8: 8F288122
	s_and_b32 s40, 3, s40                                      // 0000000034AC: 86282883
	s_cmp_lt_u32 s40, 1                                        // 0000000034B0: BF0A8128
	s_cbranch_scc1 label_008A                                  // 0000000034B4: BF85001C
	s_add_u32 s41, s30, 0xff                                   // 0000000034B8: 8029FF1E 000000FF
	s_lshr_b32 s41, s41, 8                                     // 0000000034C0: 8F298829
	s_add_u32 s41, s41, 1                                      // 0000000034C4: 80298129
	s_lshr_b32 s6, s41, 1                                      // 0000000034C8: 8F068129
	s_cmp_eq_u32 s40, 2                                        // 0000000034CC: BF068228
	s_cbranch_scc1 label_007D                                  // 0000000034D0: BF850008
	s_lshr_b32 s41, s6, 2                                      // 0000000034D4: 8F298206
	s_lshr_b32 s42, s4, 2                                      // 0000000034D8: 8F2A8204
	s_and_b32 s40, s4, 3                                       // 0000000034DC: 86288304
	s_mul_i32 s40, s40, s41                                    // 0000000034E0: 92282928
	s_add_u32 s40, s42, s40                                    // 0000000034E4: 8028282A
	s_cmp_lt_i32 s42, s41                                      // 0000000034E8: BF04292A
	s_cselect_b32 s4, s40, s4                                  // 0000000034EC: 85040428
	s_branch label_008A                                        // 0000000034F0: BF82000D

00000000000034f4 <label_007D>:
	s_and_b32 s40, s2, 3                                       // 0000000034F4: 86288302
	s_mul_i32 s40, s40, s6                                     // 0000000034F8: 92280628
	s_add_u32 s40, s40, s4                                     // 0000000034FC: 80280428
	s_and_b32 s41, s40, 3                                      // 000000003500: 86298328
	s_lshr_b32 s4, s40, 2                                      // 000000003504: 8F048228
	s_and_b32 s2, s2, -4                                       // 000000003508: 8602C402
	s_add_u32 s2, s2, s41                                      // 00000000350C: 80022902
	s_nop 0                                                    // 000000003510: BF800000
	s_nop 0                                                    // 000000003514: BF800000
	;; [unrolled: 1-line block ×3, first 2 shown]
	s_nop 0                                                    // 00000000351C: BF800000
	s_nop 0                                                    // 000000003520: BF800000
	s_nop 0                                                    // 000000003524: BF800000

0000000000003528 <label_008A>:
	s_add_i32 s40, s30, 0xff                                   // 000000003528: 8128FF1E 000000FF
	s_lshr_b32 s40, s40, 8                                     // 000000003530: 8F288828
	s_addk_i32 s40, 0x1                                        // 000000003534: B7280001
	s_lshr_b32 s40, s40, 1                                     // 000000003538: 8F288128
	s_cmp_lt_i32 s4, s40                                       // 00000000353C: BF042804
	s_cbranch_scc0 label_0E01                                  // 000000003540: BF840D70
	s_mul_i32 s40, s30, s62                                    // 000000003544: 92283E1E
	s_mov_b32 s10, s40                                         // 000000003548: BE8A0028
	s_mul_i32 s40, s30, s83                                    // 00000000354C: 9228531E
	s_mov_b32 s22, s40                                         // 000000003550: BE960028
	s_mul_i32 s40, s7, s61                                     // 000000003554: 92283D07
	s_mov_b32 s14, s40                                         // 000000003558: BE8E0028
	s_mul_i32 s40, s7, s80                                     // 00000000355C: 92285007
	s_mov_b32 s18, s40                                         // 000000003560: BE920028
	s_mul_i32 s40, s30, 4                                      // 000000003564: 9228841E
	s_mov_b32 s26, s40                                         // 000000003568: BE9A0028
	s_mov_b32 s23, 0x20000                                     // 00000000356C: BE9700FF 00020000
	s_mov_b32 s11, 0x20000                                     // 000000003574: BE8B00FF 00020000
	s_mov_b32 s15, 0x20000                                     // 00000000357C: BE8F00FF 00020000
	s_mov_b32 s19, 0x20000                                     // 000000003584: BE9300FF 00020000
	s_mov_b32 s27, 0x20000                                     // 00000000358C: BE9B00FF 00020000
	s_and_b32 s21, s21, 0xffff                                 // 000000003594: 8615FF15 0000FFFF
	s_and_b32 s9, s9, 0xffff                                   // 00000000359C: 8609FF09 0000FFFF
	s_and_b32 s13, s13, 0xffff                                 // 0000000035A4: 860DFF0D 0000FFFF
	s_and_b32 s17, s17, 0xffff                                 // 0000000035AC: 8611FF11 0000FFFF
	s_and_b32 s25, s25, 0xffff                                 // 0000000035B4: 8619FF19 0000FFFF
	s_nop 0                                                    // 0000000035BC: BF800000
	s_nop 0                                                    // 0000000035C0: BF800000
	s_mov_b32 s64, s2                                          // 0000000035C4: BEC00002
	s_mov_b32 s65, s46                                         // 0000000035C8: BEC1002E
	v_cvt_f32_u32_e32 v16, s65                                 // 0000000035CC: 7E200C41
	s_sub_i32 s40, 0, s65                                      // 0000000035D0: 81A84180
	v_rcp_iflag_f32_e32 v16, v16                               // 0000000035D4: 7E204710
	s_nop 0                                                    // 0000000035D8: BF800000
	v_mul_f32_e32 v16, 0x4f7ffffe, v16                         // 0000000035DC: 0A2020FF 4F7FFFFE
	v_cvt_u32_f32_e32 v16, v16                                 // 0000000035E4: 7E200F10
	v_mul_lo_u32 v17, s40, v16                                 // 0000000035E8: D2850011 00022028
	v_mul_hi_u32 v17, v16, v17                                 // 0000000035F0: D2860011 00022310
	v_add_u32_e32 v16, v16, v17                                // 0000000035F8: 68202310
	v_mul_hi_u32 v16, s64, v16                                 // 0000000035FC: D2860010 00022040
	v_mul_lo_u32 v17, v16, s65                                 // 000000003604: D2850011 00008310
	v_sub_u32_e32 v19, s64, v17                                // 00000000360C: 6A262240
	v_add_u32_e32 v18, 1, v16                                  // 000000003610: 68242081
	v_cmp_le_u32_e32 vcc, s65, v19                             // 000000003614: 7D962641
	v_subrev_u32_e32 v17, s65, v19                             // 000000003618: 6C222641
	s_nop 0                                                    // 00000000361C: BF800000
	v_cndmask_b32_e32 v16, v16, v18, vcc                       // 000000003620: 00202510
	v_cndmask_b32_e32 v19, v19, v17, vcc                       // 000000003624: 00262313
	v_add_u32_e32 v17, 1, v16                                  // 000000003628: 68222081
	v_cmp_le_u32_e32 vcc, s65, v19                             // 00000000362C: 7D962641
	s_nop 1                                                    // 000000003630: BF800001
	v_cndmask_b32_e32 v19, v16, v17, vcc                       // 000000003634: 00262310
	s_nop 3                                                    // 000000003638: BF800003
	v_readfirstlane_b32 s66, v19                               // 00000000363C: 7E840513
	s_nop 3                                                    // 000000003640: BF800003
	s_mov_b32 s49, 0x7060302                                   // 000000003644: BEB100FF 07060302
	s_mov_b32 s50, 0x5040100                                   // 00000000364C: BEB200FF 05040100
	v_mov_b32_e32 v41, 0xffff0000                              // 000000003654: 7E5202FF FFFF0000
	v_mov_b32_e32 v42, 0x7fff0000                              // 00000000365C: 7E5402FF 7FFF0000
	v_mov_b32_e32 v43, 0x7fff                                  // 000000003664: 7E5602FF 00007FFF
	v_lshrrev_b32_e32 v16, 5, v0                               // 00000000366C: 20200085
	v_sub_u32_e32 v16, 1, v16                                  // 000000003670: 6A202081
	v_mul_i32_i24_e32 v32, 0x80, v16                           // 000000003674: 0C4020FF 00000080
	v_and_b32_e32 v16, 31, v0                                  // 00000000367C: 2620009F
	v_mul_i32_i24_e32 v16, 4, v16                              // 000000003680: 0C202084
	v_add_u32_e32 v32, v16, v32                                // 000000003684: 68404110
	s_mov_b32 s60, 0                                           // 000000003688: BEBC0080
	s_mov_b32 s35, 0                                           // 00000000368C: BEA30080
	s_mul_i32 s43, 32, s61                                     // 000000003690: 922B3DA0
	s_mul_i32 s44, 32, s80                                     // 000000003694: 922C50A0
	s_mul_i32 s40, s92, s62                                    // 000000003698: 92283E5C
	s_mul_hi_u32 s42, s92, s62                                 // 00000000369C: 962A3E5C
	s_and_b32 s42, s42, 0xffff                                 // 0000000036A0: 862AFF2A 0000FFFF
	s_mul_i32 s41, s2, s32                                     // 0000000036A8: 92292002
	s_add_u32 s40, s40, s41                                    // 0000000036AC: 80282928
	s_add_u32 s8, s40, s8                                      // 0000000036B0: 80080828
	s_addc_u32 s9, s42, s9                                     // 0000000036B4: 8209092A
	s_mul_i32 s40, s92, s83                                    // 0000000036B8: 9228535C
	s_mul_hi_u32 s42, s92, s83                                 // 0000000036BC: 962A535C
	s_and_b32 s42, s42, 0xffff                                 // 0000000036C0: 862AFF2A 0000FFFF
	s_mul_i32 s41, s2, s84                                     // 0000000036C8: 92295402
	s_add_u32 s40, s40, s41                                    // 0000000036CC: 80282928
	s_add_u32 s20, s40, s20                                    // 0000000036D0: 80141428
	s_addc_u32 s21, s42, s21                                   // 0000000036D4: 8215152A
	s_mul_i32 s40, s2, s86                                     // 0000000036D8: 92285602
	s_mul_i32 s41, s92, 4                                      // 0000000036DC: 9229845C
	s_add_i32 s40, s40, s41                                    // 0000000036E0: 81282928
	s_add_u32 s24, s40, s24                                    // 0000000036E4: 80181828
	s_addc_u32 s25, 0, s25                                     // 0000000036E8: 82191980
	s_mul_i32 s40, s93, s61                                    // 0000000036EC: 92283D5D
	s_mul_hi_u32 s42, s93, s61                                 // 0000000036F0: 962A3D5D
	s_and_b32 s42, s42, 0xffff                                 // 0000000036F4: 862AFF2A 0000FFFF
	s_mul_i32 s41, s66, s47                                    // 0000000036FC: 92292F42
	s_add_u32 s40, s40, s41                                    // 000000003700: 80282928
	s_add_u32 s12, s40, s12                                    // 000000003704: 800C0C28
	s_addc_u32 s13, s42, s13                                   // 000000003708: 820D0D2A
	s_mul_i32 s40, s93, s80                                    // 00000000370C: 9228505D
	s_mul_hi_u32 s42, s93, s80                                 // 000000003710: 962A505D
	s_and_b32 s42, s42, 0xffff                                 // 000000003714: 862AFF2A 0000FFFF
	s_mul_i32 s41, s66, s81                                    // 00000000371C: 92295142
	s_add_u32 s40, s40, s41                                    // 000000003720: 80282928
	s_add_u32 s16, s40, s16                                    // 000000003724: 80101028
	s_addc_u32 s17, s42, s17                                   // 000000003728: 8211112A
	s_mov_b32 s52, 0                                           // 00000000372C: BEB40080
	s_mov_b32 s53, 32                                          // 000000003730: BEB500A0
	s_mov_b32 s36, 0                                           // 000000003734: BEA40080
	s_mov_b32 s29, 0x3fb8aa3b                                  // 000000003738: BE9D00FF 3FB8AA3B
	v_mov_b32_e32 v31, 0xff800000                              // 000000003740: 7E3E02FF FF800000
	s_mov_b32 s59, 0                                           // 000000003748: BEBB0080
	s_lshr_b32 s54, s7, 5                                      // 00000000374C: 8F368507
	s_lshl_b32 s54, s54, 5                                     // 000000003750: 8E368536
	v_lshrrev_b32_e32 v16, 5, v0                               // 000000003754: 20200085
	v_mul_i32_i24_e32 v30, 4, v16                              // 000000003758: 0C3C2084

000000000000375c <label_0117>:
	s_add_u32 s38, s4, 1                                       // 00000000375C: 80268104
	s_lshl_b32 s38, s38, 8                                     // 000000003760: 8E268826
	s_lshl_b32 s51, s4, 8                                      // 000000003764: 8E338804
	s_sub_i32 s40, s7, s30                                     // 000000003768: 81A81E07
	s_add_i32 s51, s51, s40                                    // 00000000376C: 81332833
	s_ashr_i32 s51, s51, 5                                     // 000000003770: 90338533
	s_lshl_b32 s51, s51, 5                                     // 000000003774: 8E338533
	s_add_i32 s38, s38, s40                                    // 000000003778: 81262826
	s_cmp_lt_i32 s38, s7                                       // 00000000377C: BF040726
	s_cselect_b32 s38, s38, s7                                 // 000000003780: 85260726
	s_cmp_lt_i32 s38, 32                                       // 000000003784: BF04A026
	s_cselect_b32 s38, 32, s38                                 // 000000003788: 852626A0
	s_nop 0                                                    // 00000000378C: BF800000
	s_nop 0                                                    // 000000003790: BF800000
	s_mul_i32 s40, s5, 32                                      // 000000003794: 9228A005
	v_lshrrev_b32_e32 v16, 5, v0                               // 000000003798: 20200085
	v_mul_i32_i24_e32 v16, 4, v16                              // 00000000379C: 0C202084
	v_and_b32_e32 v29, 31, v0                                  // 0000000037A0: 263A009F
	v_sub_i32 v29, v29, v16                                    // 0000000037A4: D29D001D 0002211D
	s_nop 0                                                    // 0000000037AC: BF800000
	v_add_i32 v29, v29, s40                                    // 0000000037B0: D29C001D 0000511D
	s_mov_b32 s39, 0                                           // 0000000037B8: BEA70080
	v_mov_b32_e32 v17, s29                                     // 0000000037BC: 7E22021D
	v_mov_b32_e32 v16, s28                                     // 0000000037C0: 7E20021C
	v_mul_f32_e32 v16, s29, v16                                // 0000000037C4: 0A20201D
	v_rcp_f32_e32 v17, v17                                     // 0000000037C8: 7E224511
	v_mov_b32_e32 v22, 0                                       // 0000000037CC: 7E2C0280
	v_mov_b32_e32 v28, 0xff7fffff                              // 0000000037D0: 7E3802FF FF7FFFFF
	v_mov_b32_e32 v20, 0                                       // 0000000037D8: 7E280280
	v_mov_b32_e32 v22, 0                                       // 0000000037DC: 7E2C0280
	v_readfirstlane_b32 s56, v16                               // 0000000037E0: 7E700510
	v_readfirstlane_b32 s45, v17                               // 0000000037E4: 7E5A0511
	v_rcp_f32_e32 v16, v16                                     // 0000000037E8: 7E204510
	s_nop 1                                                    // 0000000037EC: BF800001
	v_mul_f32_e32 v16, v28, v16                                // 0000000037F0: 0A20211C
	v_max_f32_e32 v28, v28, v16                                // 0000000037F4: 1638211C
	s_mul_i32 s63, s4, s31                                     // 0000000037F8: 923F1F04
	v_lshlrev_b32_e32 v8, 2, v0                                // 0000000037FC: 24100082
	s_mul_i32 s40, s5, s62                                     // 000000003800: 92283E05
	v_add_u32_e32 v8, s40, v8                                  // 000000003804: 68101028
	s_mul_i32 s41, 8, s62                                      // 000000003808: 92293E88
	v_add_u32_e32 v9, s41, v8                                  // 00000000380C: 68121029
	v_add_u32_e32 v10, s41, v9                                 // 000000003810: 68141229
	v_add_u32_e32 v11, s41, v10                                // 000000003814: 68161429
	v_add_u32_e32 v8, s63, v8                                  // 000000003818: 6810103F
	v_add_u32_e32 v9, s63, v9                                  // 00000000381C: 6812123F
	v_add_u32_e32 v10, s63, v10                                // 000000003820: 6814143F
	v_add_u32_e32 v11, s63, v11                                // 000000003824: 6816163F
	s_mul_i32 s40, s5, 0x110                                   // 000000003828: 9228FF05 00000110
	s_add_u32 s58, 0x4400, s40                                 // 000000003830: 803A28FF 00004400
	s_mov_b32 s57, s56                                         // 000000003838: BEB90038
	s_mov_b32 s40, 0                                           // 00000000383C: BEA80080
	s_add_u32 m0, s40, s58                                     // 000000003840: 807C3A28
	s_mul_i32 s40, 0, s62                                      // 000000003844: 92283E80
	v_add_u32_e32 v4, s40, v8                                  // 000000003848: 68081028
	v_add_u32_e32 v5, s40, v9                                  // 00000000384C: 680A1228
	v_add_u32_e32 v6, s40, v10                                 // 000000003850: 680C1428
	v_add_u32_e32 v7, s40, v11                                 // 000000003854: 680E1628
	buffer_load_dword v4, s[8:11], s59 offen lds               // 000000003858: E0511000 3B020004
	s_add_u32 m0, 0x880, m0                                    // 000000003860: 807C7CFF 00000880
	buffer_load_dword v5, s[8:11], s59 offen lds               // 000000003868: E0511000 3B020005
	s_add_u32 m0, 0x880, m0                                    // 000000003870: 807C7CFF 00000880
	buffer_load_dword v6, s[8:11], s59 offen lds               // 000000003878: E0511000 3B020006
	s_add_u32 m0, 0x880, m0                                    // 000000003880: 807C7CFF 00000880
	buffer_load_dword v7, s[8:11], s59 offen lds               // 000000003888: E0511000 3B020007
	s_add_u32 m0, 0x880, m0                                    // 000000003890: 807C7CFF 00000880
	s_mov_b32 s40, 0x2200                                      // 000000003898: BEA800FF 00002200
	s_add_u32 m0, s40, s58                                     // 0000000038A0: 807C3A28
	s_mul_i32 s40, 32, s62                                     // 0000000038A4: 92283EA0
	v_add_u32_e32 v4, s40, v8                                  // 0000000038A8: 68081028
	v_add_u32_e32 v5, s40, v9                                  // 0000000038AC: 680A1228
	v_add_u32_e32 v6, s40, v10                                 // 0000000038B0: 680C1428
	v_add_u32_e32 v7, s40, v11                                 // 0000000038B4: 680E1628
	buffer_load_dword v4, s[8:11], s59 offen lds               // 0000000038B8: E0511000 3B020004
	s_add_u32 m0, 0x880, m0                                    // 0000000038C0: 807C7CFF 00000880
	buffer_load_dword v5, s[8:11], s59 offen lds               // 0000000038C8: E0511000 3B020005
	s_add_u32 m0, 0x880, m0                                    // 0000000038D0: 807C7CFF 00000880
	buffer_load_dword v6, s[8:11], s59 offen lds               // 0000000038D8: E0511000 3B020006
	s_add_u32 m0, 0x880, m0                                    // 0000000038E0: 807C7CFF 00000880
	buffer_load_dword v7, s[8:11], s59 offen lds               // 0000000038E8: E0511000 3B020007
	s_add_u32 m0, 0x880, m0                                    // 0000000038F0: 807C7CFF 00000880
	s_mov_b32 s40, 0x4400                                      // 0000000038F8: BEA800FF 00004400
	s_add_u32 m0, s40, s58                                     // 000000003900: 807C3A28
	s_mul_i32 s40, 64, s62                                     // 000000003904: 92283EC0
	v_add_u32_e32 v4, s40, v8                                  // 000000003908: 68081028
	v_add_u32_e32 v5, s40, v9                                  // 00000000390C: 680A1228
	v_add_u32_e32 v6, s40, v10                                 // 000000003910: 680C1428
	v_add_u32_e32 v7, s40, v11                                 // 000000003914: 680E1628
	buffer_load_dword v4, s[8:11], s59 offen lds               // 000000003918: E0511000 3B020004
	s_add_u32 m0, 0x880, m0                                    // 000000003920: 807C7CFF 00000880
	buffer_load_dword v5, s[8:11], s59 offen lds               // 000000003928: E0511000 3B020005
	s_add_u32 m0, 0x880, m0                                    // 000000003930: 807C7CFF 00000880
	buffer_load_dword v6, s[8:11], s59 offen lds               // 000000003938: E0511000 3B020006
	s_add_u32 m0, 0x880, m0                                    // 000000003940: 807C7CFF 00000880
	buffer_load_dword v7, s[8:11], s59 offen lds               // 000000003948: E0511000 3B020007
	s_add_u32 m0, 0x880, m0                                    // 000000003950: 807C7CFF 00000880
	s_mov_b32 s40, 0x6600                                      // 000000003958: BEA800FF 00006600
	s_add_u32 m0, s40, s58                                     // 000000003960: 807C3A28
	s_mul_i32 s40, 0x60, s62                                   // 000000003964: 92283EFF 00000060
	v_add_u32_e32 v4, s40, v8                                  // 00000000396C: 68081028
	v_add_u32_e32 v5, s40, v9                                  // 000000003970: 680A1228
	v_add_u32_e32 v6, s40, v10                                 // 000000003974: 680C1428
	v_add_u32_e32 v7, s40, v11                                 // 000000003978: 680E1628
	buffer_load_dword v4, s[8:11], s59 offen lds               // 00000000397C: E0511000 3B020004
	s_add_u32 m0, 0x880, m0                                    // 000000003984: 807C7CFF 00000880
	buffer_load_dword v5, s[8:11], s59 offen lds               // 00000000398C: E0511000 3B020005
	s_add_u32 m0, 0x880, m0                                    // 000000003994: 807C7CFF 00000880
	buffer_load_dword v6, s[8:11], s59 offen lds               // 00000000399C: E0511000 3B020006
	s_add_u32 m0, 0x880, m0                                    // 0000000039A4: 807C7CFF 00000880
	buffer_load_dword v7, s[8:11], s59 offen lds               // 0000000039AC: E0511000 3B020007
	s_add_u32 m0, 0x880, m0                                    // 0000000039B4: 807C7CFF 00000880
	v_mov_b32_e32 v96, 0                                       // 0000000039BC: 7EC00280
	v_mov_b32_e32 v97, 0                                       // 0000000039C0: 7EC20280
	v_mov_b32_e32 v98, 0                                       // 0000000039C4: 7EC40280
	v_mov_b32_e32 v99, 0                                       // 0000000039C8: 7EC60280
	v_mov_b32_e32 v100, 0                                      // 0000000039CC: 7EC80280
	v_mov_b32_e32 v101, 0                                      // 0000000039D0: 7ECA0280
	v_mov_b32_e32 v102, 0                                      // 0000000039D4: 7ECC0280
	v_mov_b32_e32 v103, 0                                      // 0000000039D8: 7ECE0280
	v_mov_b32_e32 v104, 0                                      // 0000000039DC: 7ED00280
	v_mov_b32_e32 v105, 0                                      // 0000000039E0: 7ED20280
	v_mov_b32_e32 v106, 0                                      // 0000000039E4: 7ED40280
	v_mov_b32_e32 v107, 0                                      // 0000000039E8: 7ED60280
	v_mov_b32_e32 v108, 0                                      // 0000000039EC: 7ED80280
	v_mov_b32_e32 v109, 0                                      // 0000000039F0: 7EDA0280
	v_mov_b32_e32 v110, 0                                      // 0000000039F4: 7EDC0280
	v_mov_b32_e32 v111, 0                                      // 0000000039F8: 7EDE0280
	v_mov_b32_e32 v112, 0                                      // 0000000039FC: 7EE00280
	v_mov_b32_e32 v113, 0                                      // 000000003A00: 7EE20280
	v_mov_b32_e32 v114, 0                                      // 000000003A04: 7EE40280
	v_mov_b32_e32 v115, 0                                      // 000000003A08: 7EE60280
	v_mov_b32_e32 v116, 0                                      // 000000003A0C: 7EE80280
	v_mov_b32_e32 v117, 0                                      // 000000003A10: 7EEA0280
	v_mov_b32_e32 v118, 0                                      // 000000003A14: 7EEC0280
	v_mov_b32_e32 v119, 0                                      // 000000003A18: 7EEE0280
	v_mov_b32_e32 v120, 0                                      // 000000003A1C: 7EF00280
	v_mov_b32_e32 v121, 0                                      // 000000003A20: 7EF20280
	v_mov_b32_e32 v122, 0                                      // 000000003A24: 7EF40280
	v_mov_b32_e32 v123, 0                                      // 000000003A28: 7EF60280
	v_mov_b32_e32 v124, 0                                      // 000000003A2C: 7EF80280
	v_mov_b32_e32 v125, 0                                      // 000000003A30: 7EFA0280
	v_mov_b32_e32 v126, 0                                      // 000000003A34: 7EFC0280
	v_mov_b32_e32 v127, 0                                      // 000000003A38: 7EFE0280
	v_lshrrev_b32_e32 v16, 5, v0                               // 000000003A3C: 20200085
	v_mul_i32_i24_e32 v17, 4, v16                              // 000000003A40: 0C222084
	v_and_b32_e32 v16, 31, v0                                  // 000000003A44: 2620009F
	v_mul_i32_i24_e32 v2, 0x44, v16                            // 000000003A48: 0C0420FF 00000044
	v_add_u32_e32 v2, v2, v17                                  // 000000003A50: 68042302
	v_lshlrev_b32_e32 v2, 2, v2                                // 000000003A54: 24040482
	s_and_b32 s40, 3, s5                                       // 000000003A58: 86280583
	s_mul_i32 s40, s40, 0x2200                                 // 000000003A5C: 9228FF28 00002200
	v_add_u32_e32 v2, s40, v2                                  // 000000003A64: 68040428
	s_waitcnt vmcnt(0) expcnt(0) lgkmcnt(0)                    // 000000003A68: BF8C0000
	s_barrier                                                  // 000000003A6C: BF8A0000
	s_cmp_lt_i32 s5, 4                                         // 000000003A70: BF048405
	s_cbranch_scc0 label_01EE                                  // 000000003A74: BF840010
	ds_read_b128 v[160:163], v2 offset:17408                   // 000000003A78: D9FE4400 A0000002
	ds_read_b128 v[164:167], v2 offset:17440                   // 000000003A80: D9FE4420 A4000002
	ds_read_b128 v[168:171], v2 offset:17472                   // 000000003A88: D9FE4440 A8000002
	ds_read_b128 v[172:175], v2 offset:17504                   // 000000003A90: D9FE4460 AC000002
	ds_read_b128 v[176:179], v2 offset:17536                   // 000000003A98: D9FE4480 B0000002
	ds_read_b128 v[180:183], v2 offset:17568                   // 000000003AA0: D9FE44A0 B4000002
	ds_read_b128 v[184:187], v2 offset:17600                   // 000000003AA8: D9FE44C0 B8000002
	ds_read_b128 v[188:191], v2 offset:17632                   // 000000003AB0: D9FE44E0 BC000002

0000000000003ab8 <label_01EE>:
	s_waitcnt vmcnt(0) expcnt(0) lgkmcnt(0)                    // 000000003AB8: BF8C0000
	s_barrier                                                  // 000000003ABC: BF8A0000
	s_mov_b32 s40, 0                                           // 000000003AC0: BEA80080
	s_add_u32 m0, s40, s58                                     // 000000003AC4: 807C3A28
	s_mul_i32 s40, 0x80, s62                                   // 000000003AC8: 92283EFF 00000080
	v_add_u32_e32 v4, s40, v8                                  // 000000003AD0: 68081028
	v_add_u32_e32 v5, s40, v9                                  // 000000003AD4: 680A1228
	v_add_u32_e32 v6, s40, v10                                 // 000000003AD8: 680C1428
	v_add_u32_e32 v7, s40, v11                                 // 000000003ADC: 680E1628
	buffer_load_dword v4, s[8:11], s59 offen lds               // 000000003AE0: E0511000 3B020004
	s_add_u32 m0, 0x880, m0                                    // 000000003AE8: 807C7CFF 00000880
	buffer_load_dword v5, s[8:11], s59 offen lds               // 000000003AF0: E0511000 3B020005
	s_add_u32 m0, 0x880, m0                                    // 000000003AF8: 807C7CFF 00000880
	buffer_load_dword v6, s[8:11], s59 offen lds               // 000000003B00: E0511000 3B020006
	s_add_u32 m0, 0x880, m0                                    // 000000003B08: 807C7CFF 00000880
	buffer_load_dword v7, s[8:11], s59 offen lds               // 000000003B10: E0511000 3B020007
	s_add_u32 m0, 0x880, m0                                    // 000000003B18: 807C7CFF 00000880
	s_mov_b32 s40, 0x2200                                      // 000000003B20: BEA800FF 00002200
	s_add_u32 m0, s40, s58                                     // 000000003B28: 807C3A28
	s_mul_i32 s40, 0xa0, s62                                   // 000000003B2C: 92283EFF 000000A0
	v_add_u32_e32 v4, s40, v8                                  // 000000003B34: 68081028
	v_add_u32_e32 v5, s40, v9                                  // 000000003B38: 680A1228
	v_add_u32_e32 v6, s40, v10                                 // 000000003B3C: 680C1428
	v_add_u32_e32 v7, s40, v11                                 // 000000003B40: 680E1628
	buffer_load_dword v4, s[8:11], s59 offen lds               // 000000003B44: E0511000 3B020004
	s_add_u32 m0, 0x880, m0                                    // 000000003B4C: 807C7CFF 00000880
	buffer_load_dword v5, s[8:11], s59 offen lds               // 000000003B54: E0511000 3B020005
	s_add_u32 m0, 0x880, m0                                    // 000000003B5C: 807C7CFF 00000880
	buffer_load_dword v6, s[8:11], s59 offen lds               // 000000003B64: E0511000 3B020006
	s_add_u32 m0, 0x880, m0                                    // 000000003B6C: 807C7CFF 00000880
	buffer_load_dword v7, s[8:11], s59 offen lds               // 000000003B74: E0511000 3B020007
	s_add_u32 m0, 0x880, m0                                    // 000000003B7C: 807C7CFF 00000880
	s_mov_b32 s40, 0x4400                                      // 000000003B84: BEA800FF 00004400
	s_add_u32 m0, s40, s58                                     // 000000003B8C: 807C3A28
	s_mul_i32 s40, 0xc0, s62                                   // 000000003B90: 92283EFF 000000C0
	v_add_u32_e32 v4, s40, v8                                  // 000000003B98: 68081028
	v_add_u32_e32 v5, s40, v9                                  // 000000003B9C: 680A1228
	v_add_u32_e32 v6, s40, v10                                 // 000000003BA0: 680C1428
	v_add_u32_e32 v7, s40, v11                                 // 000000003BA4: 680E1628
	buffer_load_dword v4, s[8:11], s59 offen lds               // 000000003BA8: E0511000 3B020004
	s_add_u32 m0, 0x880, m0                                    // 000000003BB0: 807C7CFF 00000880
	buffer_load_dword v5, s[8:11], s59 offen lds               // 000000003BB8: E0511000 3B020005
	s_add_u32 m0, 0x880, m0                                    // 000000003BC0: 807C7CFF 00000880
	buffer_load_dword v6, s[8:11], s59 offen lds               // 000000003BC8: E0511000 3B020006
	s_add_u32 m0, 0x880, m0                                    // 000000003BD0: 807C7CFF 00000880
	buffer_load_dword v7, s[8:11], s59 offen lds               // 000000003BD8: E0511000 3B020007
	s_add_u32 m0, 0x880, m0                                    // 000000003BE0: 807C7CFF 00000880
	s_mov_b32 s40, 0x6600                                      // 000000003BE8: BEA800FF 00006600
	s_add_u32 m0, s40, s58                                     // 000000003BF0: 807C3A28
	s_mul_i32 s40, 0xe0, s62                                   // 000000003BF4: 92283EFF 000000E0
	v_add_u32_e32 v4, s40, v8                                  // 000000003BFC: 68081028
	v_add_u32_e32 v5, s40, v9                                  // 000000003C00: 680A1228
	v_add_u32_e32 v6, s40, v10                                 // 000000003C04: 680C1428
	v_add_u32_e32 v7, s40, v11                                 // 000000003C08: 680E1628
	buffer_load_dword v4, s[8:11], s59 offen lds               // 000000003C0C: E0511000 3B020004
	s_add_u32 m0, 0x880, m0                                    // 000000003C14: 807C7CFF 00000880
	buffer_load_dword v5, s[8:11], s59 offen lds               // 000000003C1C: E0511000 3B020005
	s_add_u32 m0, 0x880, m0                                    // 000000003C24: 807C7CFF 00000880
	buffer_load_dword v6, s[8:11], s59 offen lds               // 000000003C2C: E0511000 3B020006
	s_add_u32 m0, 0x880, m0                                    // 000000003C34: 807C7CFF 00000880
	buffer_load_dword v7, s[8:11], s59 offen lds               // 000000003C3C: E0511000 3B020007
	s_add_u32 m0, 0x880, m0                                    // 000000003C44: 807C7CFF 00000880
	v_mov_b32_e32 v128, 0                                      // 000000003C4C: 7F000280
	v_mov_b32_e32 v129, 0                                      // 000000003C50: 7F020280
	v_mov_b32_e32 v130, 0                                      // 000000003C54: 7F040280
	v_mov_b32_e32 v131, 0                                      // 000000003C58: 7F060280
	v_mov_b32_e32 v132, 0                                      // 000000003C5C: 7F080280
	v_mov_b32_e32 v133, 0                                      // 000000003C60: 7F0A0280
	v_mov_b32_e32 v134, 0                                      // 000000003C64: 7F0C0280
	v_mov_b32_e32 v135, 0                                      // 000000003C68: 7F0E0280
	v_mov_b32_e32 v136, 0                                      // 000000003C6C: 7F100280
	v_mov_b32_e32 v137, 0                                      // 000000003C70: 7F120280
	v_mov_b32_e32 v138, 0                                      // 000000003C74: 7F140280
	v_mov_b32_e32 v139, 0                                      // 000000003C78: 7F160280
	v_mov_b32_e32 v140, 0                                      // 000000003C7C: 7F180280
	v_mov_b32_e32 v141, 0                                      // 000000003C80: 7F1A0280
	v_mov_b32_e32 v142, 0                                      // 000000003C84: 7F1C0280
	v_mov_b32_e32 v143, 0                                      // 000000003C88: 7F1E0280
	v_mov_b32_e32 v144, 0                                      // 000000003C8C: 7F200280
	v_mov_b32_e32 v145, 0                                      // 000000003C90: 7F220280
	v_mov_b32_e32 v146, 0                                      // 000000003C94: 7F240280
	v_mov_b32_e32 v147, 0                                      // 000000003C98: 7F260280
	v_mov_b32_e32 v148, 0                                      // 000000003C9C: 7F280280
	v_mov_b32_e32 v149, 0                                      // 000000003CA0: 7F2A0280
	v_mov_b32_e32 v150, 0                                      // 000000003CA4: 7F2C0280
	v_mov_b32_e32 v151, 0                                      // 000000003CA8: 7F2E0280
	v_mov_b32_e32 v152, 0                                      // 000000003CAC: 7F300280
	v_mov_b32_e32 v153, 0                                      // 000000003CB0: 7F320280
	v_mov_b32_e32 v154, 0                                      // 000000003CB4: 7F340280
	v_mov_b32_e32 v155, 0                                      // 000000003CB8: 7F360280
	v_mov_b32_e32 v156, 0                                      // 000000003CBC: 7F380280
	v_mov_b32_e32 v157, 0                                      // 000000003CC0: 7F3A0280
	v_mov_b32_e32 v158, 0                                      // 000000003CC4: 7F3C0280
	v_mov_b32_e32 v159, 0                                      // 000000003CC8: 7F3E0280
	s_cmp_le_u32 s7, 0                                         // 000000003CCC: BF0B8007
	s_cbranch_scc1 label_0CA0                                  // 000000003CD0: BF850A2B
	v_lshrrev_b32_e32 v16, 5, v0                               // 000000003CD4: 20200085
	v_mul_i32_i24_e32 v17, 4, v16                              // 000000003CD8: 0C222084
	v_and_b32_e32 v16, 31, v0                                  // 000000003CDC: 2620009F
	v_mul_i32_i24_e32 v12, 0x44, v16                           // 000000003CE0: 0C1820FF 00000044
	v_add_u32_e32 v12, v12, v17                                // 000000003CE8: 6818230C
	v_lshlrev_b32_e32 v12, 2, v12                              // 000000003CEC: 24181882
	v_lshrrev_b32_e32 v16, 5, v0                               // 000000003CF0: 20200085
	v_mul_i32_i24_e32 v17, 0x80, v16                           // 000000003CF4: 0C2220FF 00000080
	v_and_b32_e32 v16, 30, v0                                  // 000000003CFC: 2620009E
	v_add_u32_e32 v13, v17, v16                                // 000000003D00: 681A2111
	v_and_b32_e32 v16, 1, v0                                   // 000000003D04: 26200081
	v_mul_i32_i24_e32 v16, 0x410, v16                          // 000000003D08: 0C2020FF 00000410
	v_add_u32_e32 v13, v16, v13                                // 000000003D10: 681A1B10
	v_lshlrev_b32_e32 v13, 2, v13                              // 000000003D14: 241A1A82
	v_lshlrev_b32_e32 v14, 1, v0                               // 000000003D18: 241C0081
	s_mul_i32 s40, s5, 0x80                                    // 000000003D1C: 9228FF05 00000080
	v_add_u32_e32 v14, s40, v14                                // 000000003D24: 681C1C28
	v_lshlrev_b32_e32 v14, 2, v14                              // 000000003D28: 241C1C82
	v_lshlrev_b32_e32 v4, 2, v0                                // 000000003D2C: 24080082
	s_mul_i32 s40, s5, s61                                     // 000000003D30: 92283D05
	v_add_u32_e32 v4, s40, v4                                  // 000000003D34: 68080828
	s_mul_i32 s41, 8, s61                                      // 000000003D38: 92293D88
	v_add_u32_e32 v5, s41, v4                                  // 000000003D3C: 680A0829
	v_add_u32_e32 v6, s41, v5                                  // 000000003D40: 680C0A29
	v_add_u32_e32 v7, s41, v6                                  // 000000003D44: 680E0C29
	s_mul_i32 s40, s5, 0x110                                   // 000000003D48: 9228FF05 00000110
	s_add_u32 s68, 0, s40                                      // 000000003D50: 80442880
	s_add_u32 s69, 0x2200, s68                                 // 000000003D54: 804544FF 00002200
	v_lshlrev_b32_e32 v8, 2, v0                                // 000000003D5C: 24100082
	s_mul_i32 s40, s5, s80                                     // 000000003D60: 92285005
	s_mul_i32 s40, s40, 4                                      // 000000003D64: 92288428
	v_add_u32_e32 v8, s40, v8                                  // 000000003D68: 68101028
	v_add_u32_e32 v9, s80, v8                                  // 000000003D6C: 68121050
	v_add_u32_e32 v10, s80, v9                                 // 000000003D70: 68141250
	v_add_u32_e32 v11, s80, v10                                // 000000003D74: 68161450
	s_waitcnt vmcnt(0) expcnt(0) lgkmcnt(0)                    // 000000003D78: BF8C0000
	s_barrier                                                  // 000000003D7C: BF8A0000
	s_cmp_lt_i32 s5, 4                                         // 000000003D80: BF048405
	s_cbranch_scc1 label_02B2                                  // 000000003D84: BF850010
	ds_read_b128 v[160:163], v2 offset:17408                   // 000000003D88: D9FE4400 A0000002
	ds_read_b128 v[164:167], v2 offset:17440                   // 000000003D90: D9FE4420 A4000002
	ds_read_b128 v[168:171], v2 offset:17472                   // 000000003D98: D9FE4440 A8000002
	ds_read_b128 v[172:175], v2 offset:17504                   // 000000003DA0: D9FE4460 AC000002
	ds_read_b128 v[176:179], v2 offset:17536                   // 000000003DA8: D9FE4480 B0000002
	ds_read_b128 v[180:183], v2 offset:17568                   // 000000003DB0: D9FE44A0 B4000002
	ds_read_b128 v[184:187], v2 offset:17600                   // 000000003DB8: D9FE44C0 B8000002
	ds_read_b128 v[188:191], v2 offset:17632                   // 000000003DC0: D9FE44E0 BC000002

0000000000003dc8 <label_02B2>:
	s_waitcnt vmcnt(0) expcnt(0) lgkmcnt(0)                    // 000000003DC8: BF8C0000
	s_barrier                                                  // 000000003DCC: BF8A0000
	s_mov_b32 m0, s68                                          // 000000003DD0: BEFC0044
	buffer_load_dword v4, s[12:15], s60 offen lds              // 000000003DD4: E0511000 3C030004
	s_add_u32 m0, 0x880, m0                                    // 000000003DDC: 807C7CFF 00000880
	buffer_load_dword v5, s[12:15], s60 offen lds              // 000000003DE4: E0511000 3C030005
	s_add_u32 m0, 0x880, m0                                    // 000000003DEC: 807C7CFF 00000880
	buffer_load_dword v6, s[12:15], s60 offen lds              // 000000003DF4: E0511000 3C030006
	s_add_u32 m0, 0x880, m0                                    // 000000003DFC: 807C7CFF 00000880
	buffer_load_dword v7, s[12:15], s60 offen lds              // 000000003E04: E0511000 3C030007
	s_add_u32 m0, 0x880, m0                                    // 000000003E0C: 807C7CFF 00000880
	s_add_i32 s60, s43, s60                                    // 000000003E14: 813C3C2B
	s_waitcnt vmcnt(0)                                         // 000000003E18: BF8C0F70
	s_barrier                                                  // 000000003E1C: BF8A0000
	ds_read_b128 v[192:195], v12                               // 000000003E20: D9FE0000 C000000C
	ds_read_b128 v[196:199], v12 offset:32                     // 000000003E28: D9FE0020 C400000C
	ds_read_b128 v[200:203], v12 offset:64                     // 000000003E30: D9FE0040 C800000C
	ds_read_b128 v[204:207], v12 offset:96                     // 000000003E38: D9FE0060 CC00000C
	ds_read_b128 v[208:211], v12 offset:128                    // 000000003E40: D9FE0080 D000000C
	ds_read_b128 v[212:215], v12 offset:160                    // 000000003E48: D9FE00A0 D400000C
	ds_read_b128 v[216:219], v12 offset:192                    // 000000003E50: D9FE00C0 D800000C
	ds_read_b128 v[220:223], v12 offset:224                    // 000000003E58: D9FE00E0 DC00000C
	s_waitcnt lgkmcnt(0)                                       // 000000003E60: BF8CC07F
	s_barrier                                                  // 000000003E64: BF8A0000
	s_mov_b32 m0, s69                                          // 000000003E68: BEFC0045
	v_mfma_f32_32x32x8_bf16 v[64:79], v[192:193], v[160:161], 0// 000000003E6C: D3E00040 020341C0
	buffer_load_dword v4, s[12:15], s60 offen lds              // 000000003E74: E0511000 3C030004
	s_add_u32 m0, 0x880, m0                                    // 000000003E7C: 807C7CFF 00000880
	v_mfma_f32_32x32x8_bf16 v[64:79], v[194:195], v[162:163], v[64:79]// 000000003E84: D3E00040 050345C2
	v_mfma_f32_32x32x8_bf16 v[64:79], v[196:197], v[164:165], v[64:79]// 000000003E8C: D3E00040 050349C4
	buffer_load_dword v5, s[12:15], s60 offen lds              // 000000003E94: E0511000 3C030005
	s_add_u32 m0, 0x880, m0                                    // 000000003E9C: 807C7CFF 00000880
	v_mfma_f32_32x32x8_bf16 v[64:79], v[198:199], v[166:167], v[64:79]// 000000003EA4: D3E00040 05034DC6
	v_mfma_f32_32x32x8_bf16 v[64:79], v[200:201], v[168:169], v[64:79]// 000000003EAC: D3E00040 050351C8
	buffer_load_dword v6, s[12:15], s60 offen lds              // 000000003EB4: E0511000 3C030006
	s_add_u32 m0, 0x880, m0                                    // 000000003EBC: 807C7CFF 00000880
	v_mfma_f32_32x32x8_bf16 v[64:79], v[202:203], v[170:171], v[64:79]// 000000003EC4: D3E00040 050355CA
	v_mfma_f32_32x32x8_bf16 v[64:79], v[204:205], v[172:173], v[64:79]// 000000003ECC: D3E00040 050359CC
	buffer_load_dword v7, s[12:15], s60 offen lds              // 000000003ED4: E0511000 3C030007
	s_add_u32 m0, 0x880, m0                                    // 000000003EDC: 807C7CFF 00000880
	v_mfma_f32_32x32x8_bf16 v[64:79], v[206:207], v[174:175], v[64:79]// 000000003EE4: D3E00040 05035DCE
	v_mfma_f32_32x32x8_bf16 v[64:79], v[208:209], v[176:177], v[64:79]// 000000003EEC: D3E00040 050361D0
	buffer_load_dword v224, v8, s[16:19], s35 offen            // 000000003EF4: E0501000 2304E008
	v_mfma_f32_32x32x8_bf16 v[64:79], v[210:211], v[178:179], v[64:79]// 000000003EFC: D3E00040 050365D2
	v_mfma_f32_32x32x8_bf16 v[64:79], v[212:213], v[180:181], v[64:79]// 000000003F04: D3E00040 050369D4
	buffer_load_dword v225, v9, s[16:19], s35 offen            // 000000003F0C: E0501000 2304E109
	v_mfma_f32_32x32x8_bf16 v[64:79], v[214:215], v[182:183], v[64:79]// 000000003F14: D3E00040 05036DD6
	v_mfma_f32_32x32x8_bf16 v[64:79], v[216:217], v[184:185], v[64:79]// 000000003F1C: D3E00040 050371D8
	buffer_load_dword v226, v10, s[16:19], s35 offen           // 000000003F24: E0501000 2304E20A
	v_mfma_f32_32x32x8_bf16 v[64:79], v[218:219], v[186:187], v[64:79]// 000000003F2C: D3E00040 050375DA
	v_mfma_f32_32x32x8_bf16 v[64:79], v[220:221], v[188:189], v[64:79]// 000000003F34: D3E00040 050379DC
	buffer_load_dword v227, v11, s[16:19], s35 offen           // 000000003F3C: E0501000 2304E30B
	v_mfma_f32_32x32x8_bf16 v[64:79], v[222:223], v[190:191], v[64:79]// 000000003F44: D3E00040 05037DDE
	s_add_i32 s60, s43, s60                                    // 000000003F4C: 813C3C2B
	s_add_i32 s35, s44, s35                                    // 000000003F50: 8123232C
	s_cmp_lt_i32 s52, s51                                      // 000000003F54: BF043334
	s_cbranch_scc1 label_03A4                                  // 000000003F58: BF85008D
	s_sub_i32 s40, s51, s52                                    // 000000003F5C: 81A83433
	s_sub_i32 s41, s7, s30                                     // 000000003F60: 81A91E07
	s_and_b32 s41, s41, 31                                     // 000000003F64: 86299F29
	s_add_i32 s40, s40, s41                                    // 000000003F68: 81282928
	v_add_i32 v16, v29, s40                                    // 000000003F6C: D29C0010 0000511D
	s_nop 0                                                    // 000000003F74: BF800000
	v_cmp_lt_i32_e64 s[72:73], v16, 0                          // 000000003F78: D0C10048 00010110
	v_cmp_lt_i32_e64 s[74:75], v16, 1                          // 000000003F80: D0C1004A 00010310
	v_cndmask_b32_e64 v64, v64, v31, s[72:73]                  // 000000003F88: D1000040 01223F40
	v_cndmask_b32_e64 v65, v65, v31, s[74:75]                  // 000000003F90: D1000041 012A3F41
	v_cmp_lt_i32_e64 s[72:73], v16, 2                          // 000000003F98: D0C10048 00010510
	v_cmp_lt_i32_e64 s[74:75], v16, 3                          // 000000003FA0: D0C1004A 00010710
	v_cndmask_b32_e64 v66, v66, v31, s[72:73]                  // 000000003FA8: D1000042 01223F42
	v_cndmask_b32_e64 v67, v67, v31, s[74:75]                  // 000000003FB0: D1000043 012A3F43
	v_cmp_lt_i32_e64 s[72:73], v16, 8                          // 000000003FB8: D0C10048 00011110
	v_cmp_lt_i32_e64 s[74:75], v16, 9                          // 000000003FC0: D0C1004A 00011310
	v_cndmask_b32_e64 v68, v68, v31, s[72:73]                  // 000000003FC8: D1000044 01223F44
	v_cndmask_b32_e64 v69, v69, v31, s[74:75]                  // 000000003FD0: D1000045 012A3F45
	v_cmp_lt_i32_e64 s[72:73], v16, 10                         // 000000003FD8: D0C10048 00011510
	v_cmp_lt_i32_e64 s[74:75], v16, 11                         // 000000003FE0: D0C1004A 00011710
	v_cndmask_b32_e64 v70, v70, v31, s[72:73]                  // 000000003FE8: D1000046 01223F46
	v_cndmask_b32_e64 v71, v71, v31, s[74:75]                  // 000000003FF0: D1000047 012A3F47
	v_cmp_lt_i32_e64 s[72:73], v16, 16                         // 000000003FF8: D0C10048 00012110
	v_cmp_lt_i32_e64 s[74:75], v16, 17                         // 000000004000: D0C1004A 00012310
	v_cndmask_b32_e64 v72, v72, v31, s[72:73]                  // 000000004008: D1000048 01223F48
	v_cndmask_b32_e64 v73, v73, v31, s[74:75]                  // 000000004010: D1000049 012A3F49
	v_cmp_lt_i32_e64 s[72:73], v16, 18                         // 000000004018: D0C10048 00012510
	v_cmp_lt_i32_e64 s[74:75], v16, 19                         // 000000004020: D0C1004A 00012710
	v_cndmask_b32_e64 v74, v74, v31, s[72:73]                  // 000000004028: D100004A 01223F4A
	v_cndmask_b32_e64 v75, v75, v31, s[74:75]                  // 000000004030: D100004B 012A3F4B
	v_cmp_lt_i32_e64 s[72:73], v16, 24                         // 000000004038: D0C10048 00013110
	v_cmp_lt_i32_e64 s[74:75], v16, 25                         // 000000004040: D0C1004A 00013310
	v_cndmask_b32_e64 v76, v76, v31, s[72:73]                  // 000000004048: D100004C 01223F4C
	v_cndmask_b32_e64 v77, v77, v31, s[74:75]                  // 000000004050: D100004D 012A3F4D
	v_cmp_lt_i32_e64 s[72:73], v16, 26                         // 000000004058: D0C10048 00013510
	v_cmp_lt_i32_e64 s[74:75], v16, 27                         // 000000004060: D0C1004A 00013710
	v_cndmask_b32_e64 v78, v78, v31, s[72:73]                  // 000000004068: D100004E 01223F4E
	v_cndmask_b32_e64 v79, v79, v31, s[74:75]                  // 000000004070: D100004F 012A3F4F
	s_nop 0                                                    // 000000004078: BF800000
	s_cmp_lt_i32 s52, s54                                      // 00000000407C: BF043634
	s_cbranch_scc1 label_03A4                                  // 000000004080: BF850043
	s_sub_i32 s40, s7, s52                                     // 000000004084: 81A83407
	v_sub_i32 v16, s40, v30                                    // 000000004088: D29D0010 00023C28
	v_cmp_lt_i32_e64 s[72:73], 0, v16                          // 000000004090: D0C10048 00022080
	v_cmp_lt_i32_e64 s[74:75], 1, v16                          // 000000004098: D0C1004A 00022081
	v_cndmask_b32_e64 v64, v31, v64, s[72:73]                  // 0000000040A0: D1000040 0122811F
	v_cndmask_b32_e64 v65, v31, v65, s[74:75]                  // 0000000040A8: D1000041 012A831F
	v_cmp_lt_i32_e64 s[72:73], 2, v16                          // 0000000040B0: D0C10048 00022082
	v_cmp_lt_i32_e64 s[74:75], 3, v16                          // 0000000040B8: D0C1004A 00022083
	v_cndmask_b32_e64 v66, v31, v66, s[72:73]                  // 0000000040C0: D1000042 0122851F
	v_cndmask_b32_e64 v67, v31, v67, s[74:75]                  // 0000000040C8: D1000043 012A871F
	v_cmp_lt_i32_e64 s[72:73], 8, v16                          // 0000000040D0: D0C10048 00022088
	v_cmp_lt_i32_e64 s[74:75], 9, v16                          // 0000000040D8: D0C1004A 00022089
	v_cndmask_b32_e64 v68, v31, v68, s[72:73]                  // 0000000040E0: D1000044 0122891F
	v_cndmask_b32_e64 v69, v31, v69, s[74:75]                  // 0000000040E8: D1000045 012A8B1F
	v_cmp_lt_i32_e64 s[72:73], 10, v16                         // 0000000040F0: D0C10048 0002208A
	v_cmp_lt_i32_e64 s[74:75], 11, v16                         // 0000000040F8: D0C1004A 0002208B
	v_cndmask_b32_e64 v70, v31, v70, s[72:73]                  // 000000004100: D1000046 01228D1F
	v_cndmask_b32_e64 v71, v31, v71, s[74:75]                  // 000000004108: D1000047 012A8F1F
	v_cmp_lt_i32_e64 s[72:73], 16, v16                         // 000000004110: D0C10048 00022090
	v_cmp_lt_i32_e64 s[74:75], 17, v16                         // 000000004118: D0C1004A 00022091
	v_cndmask_b32_e64 v72, v31, v72, s[72:73]                  // 000000004120: D1000048 0122911F
	v_cndmask_b32_e64 v73, v31, v73, s[74:75]                  // 000000004128: D1000049 012A931F
	v_cmp_lt_i32_e64 s[72:73], 18, v16                         // 000000004130: D0C10048 00022092
	v_cmp_lt_i32_e64 s[74:75], 19, v16                         // 000000004138: D0C1004A 00022093
	v_cndmask_b32_e64 v74, v31, v74, s[72:73]                  // 000000004140: D100004A 0122951F
	v_cndmask_b32_e64 v75, v31, v75, s[74:75]                  // 000000004148: D100004B 012A971F
	v_cmp_lt_i32_e64 s[72:73], 24, v16                         // 000000004150: D0C10048 00022098
	v_cmp_lt_i32_e64 s[74:75], 25, v16                         // 000000004158: D0C1004A 00022099
	v_cndmask_b32_e64 v76, v31, v76, s[72:73]                  // 000000004160: D100004C 0122991F
	v_cndmask_b32_e64 v77, v31, v77, s[74:75]                  // 000000004168: D100004D 012A9B1F
	v_cmp_lt_i32_e64 s[72:73], 26, v16                         // 000000004170: D0C10048 0002209A
	v_cmp_lt_i32_e64 s[74:75], 27, v16                         // 000000004178: D0C1004A 0002209B
	v_cndmask_b32_e64 v78, v31, v78, s[72:73]                  // 000000004180: D100004E 01229D1F
	v_cndmask_b32_e64 v79, v31, v79, s[74:75]                  // 000000004188: D100004F 012A9F1F

0000000000004190 <label_03A4>:
	v_max3_f32 v25, v64, v65, v28                              // 000000004190: D1D30019 04728340
	v_max3_f32 v25, v66, v67, v25                              // 000000004198: D1D30019 04668742
	v_max3_f32 v25, v68, v69, v25                              // 0000000041A0: D1D30019 04668B44
	v_max3_f32 v25, v70, v71, v25                              // 0000000041A8: D1D30019 04668F46
	v_max3_f32 v25, v72, v73, v25                              // 0000000041B0: D1D30019 04669348
	v_max3_f32 v25, v74, v75, v25                              // 0000000041B8: D1D30019 0466974A
	v_max3_f32 v25, v76, v77, v25                              // 0000000041C0: D1D30019 04669B4C
	v_max3_f32 v25, v78, v79, v25                              // 0000000041C8: D1D30019 04669F4E
	ds_permute_b32 v24, v32, v25                               // 0000000041D0: D87C0000 18001920
	s_waitcnt lgkmcnt(0)                                       // 0000000041D8: BF8CC07F
	v_max_f32_e32 v25, v24, v25                                // 0000000041DC: 16323318
	v_mov_b32_e32 v20, 0                                       // 0000000041E0: 7E280280
	v_mov_b32_e32 v28, v25                                     // 0000000041E4: 7E380319
	v_mul_f32_e32 v27, s56, v25                                // 0000000041E8: 0A363238
	v_mul_f32_e32 v20, s56, v20                                // 0000000041EC: 0A282838
	v_exp_f32_e32 v20, v20                                     // 0000000041F0: 7E284114
	v_add_f32_e64 v36, 0, -v27                                 // 0000000041F4: D1010024 40023680
	v_mov_b32_e32 v37, v36                                     // 0000000041FC: 7E4A0324
	v_pk_fma_f32 v[64:65], v[64:65], s[56:57], v[36:37]        // 000000004200: D3B04040 1C907140
	v_pk_fma_f32 v[66:67], v[66:67], s[56:57], v[36:37]        // 000000004208: D3B04042 1C907142
	v_pk_fma_f32 v[68:69], v[68:69], s[56:57], v[36:37]        // 000000004210: D3B04044 1C907144
	v_pk_fma_f32 v[70:71], v[70:71], s[56:57], v[36:37]        // 000000004218: D3B04046 1C907146
	v_pk_fma_f32 v[72:73], v[72:73], s[56:57], v[36:37]        // 000000004220: D3B04048 1C907148
	v_pk_fma_f32 v[74:75], v[74:75], s[56:57], v[36:37]        // 000000004228: D3B0404A 1C90714A
	v_pk_fma_f32 v[76:77], v[76:77], s[56:57], v[36:37]        // 000000004230: D3B0404C 1C90714C
	v_pk_fma_f32 v[78:79], v[78:79], s[56:57], v[36:37]        // 000000004238: D3B0404E 1C90714E
	s_nop 0                                                    // 000000004240: BF800000
	s_addk_i32 s39, 0x20                                       // 000000004244: B7270020
	s_add_i32 s52, s52, s53                                    // 000000004248: 81343534
	s_mov_b32 m0, s68                                          // 00000000424C: BEFC0044
	buffer_load_dword v4, s[12:15], s60 offen lds              // 000000004250: E0511000 3C030004
	s_add_u32 m0, 0x880, m0                                    // 000000004258: 807C7CFF 00000880
	buffer_load_dword v5, s[12:15], s60 offen lds              // 000000004260: E0511000 3C030005
	s_add_u32 m0, 0x880, m0                                    // 000000004268: 807C7CFF 00000880
	buffer_load_dword v6, s[12:15], s60 offen lds              // 000000004270: E0511000 3C030006
	s_add_u32 m0, 0x880, m0                                    // 000000004278: 807C7CFF 00000880
	buffer_load_dword v7, s[12:15], s60 offen lds              // 000000004280: E0511000 3C030007
	s_add_u32 m0, 0x880, m0                                    // 000000004288: 807C7CFF 00000880
	s_add_i32 s60, s43, s60                                    // 000000004290: 813C3C2B
	s_waitcnt vmcnt(8)                                         // 000000004294: BF8C0F78
	s_barrier                                                  // 000000004298: BF8A0000
	s_cmp_lt_i32 s39, s38                                      // 00000000429C: BF042627
	s_cbranch_scc0 label_0B96                                  // 0000000042A0: BF8407AD
	s_cmp_lt_i32 s5, 4                                         // 0000000042A4: BF048405
	s_cbranch_scc0 label_07D4                                  // 0000000042A8: BF8403E9
	buffer_load_dword v228, v8, s[16:19], s35 offen            // 0000000042AC: E0501000 2304E408
	buffer_load_dword v229, v9, s[16:19], s35 offen            // 0000000042B4: E0501000 2304E509
	buffer_load_dword v230, v10, s[16:19], s35 offen           // 0000000042BC: E0501000 2304E60A
	buffer_load_dword v231, v11, s[16:19], s35 offen           // 0000000042C4: E0501000 2304E70B
	s_add_i32 s35, s44, s35                                    // 0000000042CC: 8123232C
	ds_read_b128 v[192:195], v12 offset:8704                   // 0000000042D0: D9FE2200 C000000C
	ds_read_b128 v[196:199], v12 offset:8736                   // 0000000042D8: D9FE2220 C400000C
	ds_read_b128 v[200:203], v12 offset:8768                   // 0000000042E0: D9FE2240 C800000C
	ds_read_b128 v[204:207], v12 offset:8800                   // 0000000042E8: D9FE2260 CC00000C
	ds_read_b128 v[208:211], v12 offset:8832                   // 0000000042F0: D9FE2280 D000000C
	ds_read_b128 v[212:215], v12 offset:8864                   // 0000000042F8: D9FE22A0 D400000C
	ds_read_b128 v[216:219], v12 offset:8896                   // 000000004300: D9FE22C0 D800000C
	ds_read_b128 v[220:223], v12 offset:8928                   // 000000004308: D9FE22E0 DC00000C
	s_setprio 0                                                // 000000004310: BF8F0000
	s_barrier                                                  // 000000004314: BF8A0000

0000000000004318 <label_0406>:
	s_waitcnt lgkmcnt(0)                                       // 000000004318: BF8CC07F
	v_pk_add_f32 v[16:17], v[96:97], v[96:97]                  // 00000000431C: D3B24010 1802C160
	v_mfma_f32_32x32x8_bf16 v[80:95], v[192:193], v[160:161], 0// 000000004324: D3E00050 020341C0
	v_mfma_f32_32x32x8_bf16 v[80:95], v[194:195], v[162:163], v[80:95]// 00000000432C: D3E00050 054345C2
	v_mfma_f32_32x32x8_bf16 v[80:95], v[196:197], v[164:165], v[80:95]// 000000004334: D3E00050 054349C4
	v_mfma_f32_32x32x8_bf16 v[80:95], v[198:199], v[166:167], v[80:95]// 00000000433C: D3E00050 05434DC6
	v_mfma_f32_32x32x8_bf16 v[80:95], v[200:201], v[168:169], v[80:95]// 000000004344: D3E00050 054351C8
	v_mfma_f32_32x32x8_bf16 v[80:95], v[202:203], v[170:171], v[80:95]// 00000000434C: D3E00050 054355CA
	v_mfma_f32_32x32x8_bf16 v[80:95], v[204:205], v[172:173], v[80:95]// 000000004354: D3E00050 054359CC
	v_mfma_f32_32x32x8_bf16 v[80:95], v[206:207], v[174:175], v[80:95]// 00000000435C: D3E00050 05435DCE
	v_mfma_f32_32x32x8_bf16 v[80:95], v[208:209], v[176:177], v[80:95]// 000000004364: D3E00050 054361D0
	v_mfma_f32_32x32x8_bf16 v[80:95], v[210:211], v[178:179], v[80:95]// 00000000436C: D3E00050 054365D2
	v_mfma_f32_32x32x8_bf16 v[80:95], v[212:213], v[180:181], v[80:95]// 000000004374: D3E00050 054369D4
	v_mfma_f32_32x32x8_bf16 v[80:95], v[214:215], v[182:183], v[80:95]// 00000000437C: D3E00050 05436DD6
	v_mfma_f32_32x32x8_bf16 v[80:95], v[216:217], v[184:185], v[80:95]// 000000004384: D3E00050 054371D8
	v_mfma_f32_32x32x8_bf16 v[80:95], v[218:219], v[186:187], v[80:95]// 00000000438C: D3E00050 054375DA
	v_mfma_f32_32x32x8_bf16 v[80:95], v[220:221], v[188:189], v[80:95]// 000000004394: D3E00050 054379DC
	v_exp_f32_e32 v64, v64                                     // 00000000439C: 7E804140
	v_exp_f32_e32 v65, v65                                     // 0000000043A0: 7E824141
	v_exp_f32_e32 v66, v66                                     // 0000000043A4: 7E844142
	v_exp_f32_e32 v67, v67                                     // 0000000043A8: 7E864143
	v_exp_f32_e32 v68, v68                                     // 0000000043AC: 7E884144
	v_exp_f32_e32 v69, v69                                     // 0000000043B0: 7E8A4145
	v_exp_f32_e32 v70, v70                                     // 0000000043B4: 7E8C4146
	v_exp_f32_e32 v71, v71                                     // 0000000043B8: 7E8E4147
	v_exp_f32_e32 v72, v72                                     // 0000000043BC: 7E904148
	v_exp_f32_e32 v73, v73                                     // 0000000043C0: 7E924149
	v_exp_f32_e32 v74, v74                                     // 0000000043C4: 7E94414A
	v_exp_f32_e32 v75, v75                                     // 0000000043C8: 7E96414B
	v_exp_f32_e32 v76, v76                                     // 0000000043CC: 7E98414C
	v_exp_f32_e32 v77, v77                                     // 0000000043D0: 7E9A414D
	v_exp_f32_e32 v78, v78                                     // 0000000043D4: 7E9C414E
	v_exp_f32_e32 v79, v79                                     // 0000000043D8: 7E9E414F
	v_mul_f32_e32 v22, v20, v22                                // 0000000043DC: 0A2C2D14
	v_pk_add_f32 v[38:39], v[64:65], v[66:67]                  // 0000000043E0: D3B24026 18028540
	v_pk_add_f32 v[38:39], v[68:69], v[38:39]                  // 0000000043E8: D3B24026 18024D44
	v_pk_add_f32 v[38:39], v[70:71], v[38:39]                  // 0000000043F0: D3B24026 18024D46
	v_pk_add_f32 v[38:39], v[72:73], v[38:39]                  // 0000000043F8: D3B24026 18024D48
	v_pk_add_f32 v[38:39], v[74:75], v[38:39]                  // 000000004400: D3B24026 18024D4A
	v_pk_add_f32 v[38:39], v[76:77], v[38:39]                  // 000000004408: D3B24026 18024D4C
	v_pk_add_f32 v[38:39], v[78:79], v[38:39]                  // 000000004410: D3B24026 18024D4E
	v_add_f32_e32 v38, v38, v39                                // 000000004418: 024C4F26
	v_add_f32_e32 v22, v38, v22                                // 00000000441C: 022C2D26
	v_perm_b32 v64, v65, v64, s49                              // 000000004420: D1ED0040 00C68141
	v_perm_b32 v65, v67, v66, s49                              // 000000004428: D1ED0041 00C68543
	v_perm_b32 v66, v69, v68, s49                              // 000000004430: D1ED0042 00C68945
	v_perm_b32 v67, v71, v70, s49                              // 000000004438: D1ED0043 00C68D47
	v_perm_b32 v68, v73, v72, s49                              // 000000004440: D1ED0044 00C69149
	v_perm_b32 v69, v75, v74, s49                              // 000000004448: D1ED0045 00C6954B
	v_perm_b32 v70, v77, v76, s49                              // 000000004450: D1ED0046 00C6994D
	v_perm_b32 v71, v79, v78, s49                              // 000000004458: D1ED0047 00C69D4F
	v_mfma_f32_32x32x8_bf16 v[80:95], v[222:223], v[190:191], v[80:95]// 000000004460: D3E00050 05437DDE
	s_waitcnt vmcnt(8)                                         // 000000004468: BF8C0F78
	s_barrier                                                  // 00000000446C: BF8A0000
	v_perm_b32 v232, v225, v224, s50                           // 000000004470: D1ED00E8 00CBC1E1
	v_perm_b32 v234, v225, v224, s49                           // 000000004478: D1ED00EA 00C7C1E1
	v_perm_b32 v233, v227, v226, s50                           // 000000004480: D1ED00E9 00CBC5E3
	v_perm_b32 v235, v227, v226, s49                           // 000000004488: D1ED00EB 00C7C5E3
	ds_write_b64 v14, v[232:233] offset:17408                  // 000000004490: D89A4400 0000E80E
	ds_write_b64 v14, v[234:235] offset:21568                  // 000000004498: D89A5440 0000EA0E
	s_waitcnt lgkmcnt(0)                                       // 0000000044A0: BF8CC07F
	s_barrier                                                  // 0000000044A4: BF8A0000
	s_mov_b32 m0, s69                                          // 0000000044A8: BEFC0045
	buffer_load_dword v4, s[12:15], s60 offen lds              // 0000000044AC: E0511000 3C030004
	s_add_u32 m0, 0x880, m0                                    // 0000000044B4: 807C7CFF 00000880
	buffer_load_dword v5, s[12:15], s60 offen lds              // 0000000044BC: E0511000 3C030005
	s_add_u32 m0, 0x880, m0                                    // 0000000044C4: 807C7CFF 00000880
	buffer_load_dword v6, s[12:15], s60 offen lds              // 0000000044CC: E0511000 3C030006
	s_add_u32 m0, 0x880, m0                                    // 0000000044D4: 807C7CFF 00000880
	buffer_load_dword v7, s[12:15], s60 offen lds              // 0000000044DC: E0511000 3C030007
	s_add_u32 m0, 0x880, m0                                    // 0000000044E4: 807C7CFF 00000880
	s_add_i32 s60, s43, s60                                    // 0000000044EC: 813C3C2B
	s_nop 0                                                    // 0000000044F0: BF800000
	s_add_u32 s40, 0x80, s39                                   // 0000000044F4: 802827FF 00000080
	s_nop 0                                                    // 0000000044FC: BF800000
	s_cmp_lt_u32 s40, s38                                      // 000000004500: BF0A2628
	s_cselect_b32 s43, s43, 0                                  // 000000004504: 852B802B
	ds_read_b64 v[192:193], v13 offset:17408                   // 000000004508: D8EC4400 C000000D
	ds_read_b64 v[194:195], v13 offset:18432                   // 000000004510: D8EC4800 C200000D
	ds_read_b64 v[196:197], v13 offset:19456                   // 000000004518: D8EC4C00 C400000D
	ds_read_b64 v[198:199], v13 offset:20480                   // 000000004520: D8EC5000 C600000D
	ds_read_b64 v[200:201], v13 offset:17536                   // 000000004528: D8EC4480 C800000D
	ds_read_b64 v[202:203], v13 offset:18560                   // 000000004530: D8EC4880 CA00000D
	ds_read_b64 v[204:205], v13 offset:19584                   // 000000004538: D8EC4C80 CC00000D
	ds_read_b64 v[206:207], v13 offset:20608                   // 000000004540: D8EC5080 CE00000D
	ds_read_b64 v[208:209], v13 offset:17664                   // 000000004548: D8EC4500 D000000D
	ds_read_b64 v[210:211], v13 offset:18688                   // 000000004550: D8EC4900 D200000D
	ds_read_b64 v[212:213], v13 offset:19712                   // 000000004558: D8EC4D00 D400000D
	ds_read_b64 v[214:215], v13 offset:20736                   // 000000004560: D8EC5100 D600000D
	ds_read_b64 v[216:217], v13 offset:17792                   // 000000004568: D8EC4580 D800000D
	ds_read_b64 v[218:219], v13 offset:18816                   // 000000004570: D8EC4980 DA00000D
	ds_read_b64 v[220:221], v13 offset:19840                   // 000000004578: D8EC4D80 DC00000D
	ds_read_b64 v[222:223], v13 offset:20864                   // 000000004580: D8EC5180 DE00000D
	s_nop 0                                                    // 000000004588: BF800000
	s_cmp_lt_i32 s52, s51                                      // 00000000458C: BF043334
	s_cbranch_scc1 label_0532                                  // 000000004590: BF85008D
	s_sub_i32 s40, s51, s52                                    // 000000004594: 81A83433
	s_sub_i32 s41, s7, s30                                     // 000000004598: 81A91E07
	s_and_b32 s41, s41, 31                                     // 00000000459C: 86299F29
	s_add_i32 s40, s40, s41                                    // 0000000045A0: 81282928
	v_add_i32 v16, v29, s40                                    // 0000000045A4: D29C0010 0000511D
	s_nop 0                                                    // 0000000045AC: BF800000
	v_cmp_lt_i32_e64 s[72:73], v16, 0                          // 0000000045B0: D0C10048 00010110
	v_cmp_lt_i32_e64 s[74:75], v16, 1                          // 0000000045B8: D0C1004A 00010310
	v_cndmask_b32_e64 v80, v80, v31, s[72:73]                  // 0000000045C0: D1000050 01223F50
	v_cndmask_b32_e64 v81, v81, v31, s[74:75]                  // 0000000045C8: D1000051 012A3F51
	v_cmp_lt_i32_e64 s[72:73], v16, 2                          // 0000000045D0: D0C10048 00010510
	v_cmp_lt_i32_e64 s[74:75], v16, 3                          // 0000000045D8: D0C1004A 00010710
	v_cndmask_b32_e64 v82, v82, v31, s[72:73]                  // 0000000045E0: D1000052 01223F52
	v_cndmask_b32_e64 v83, v83, v31, s[74:75]                  // 0000000045E8: D1000053 012A3F53
	v_cmp_lt_i32_e64 s[72:73], v16, 8                          // 0000000045F0: D0C10048 00011110
	v_cmp_lt_i32_e64 s[74:75], v16, 9                          // 0000000045F8: D0C1004A 00011310
	v_cndmask_b32_e64 v84, v84, v31, s[72:73]                  // 000000004600: D1000054 01223F54
	v_cndmask_b32_e64 v85, v85, v31, s[74:75]                  // 000000004608: D1000055 012A3F55
	v_cmp_lt_i32_e64 s[72:73], v16, 10                         // 000000004610: D0C10048 00011510
	v_cmp_lt_i32_e64 s[74:75], v16, 11                         // 000000004618: D0C1004A 00011710
	v_cndmask_b32_e64 v86, v86, v31, s[72:73]                  // 000000004620: D1000056 01223F56
	v_cndmask_b32_e64 v87, v87, v31, s[74:75]                  // 000000004628: D1000057 012A3F57
	v_cmp_lt_i32_e64 s[72:73], v16, 16                         // 000000004630: D0C10048 00012110
	v_cmp_lt_i32_e64 s[74:75], v16, 17                         // 000000004638: D0C1004A 00012310
	v_cndmask_b32_e64 v88, v88, v31, s[72:73]                  // 000000004640: D1000058 01223F58
	v_cndmask_b32_e64 v89, v89, v31, s[74:75]                  // 000000004648: D1000059 012A3F59
	v_cmp_lt_i32_e64 s[72:73], v16, 18                         // 000000004650: D0C10048 00012510
	v_cmp_lt_i32_e64 s[74:75], v16, 19                         // 000000004658: D0C1004A 00012710
	v_cndmask_b32_e64 v90, v90, v31, s[72:73]                  // 000000004660: D100005A 01223F5A
	v_cndmask_b32_e64 v91, v91, v31, s[74:75]                  // 000000004668: D100005B 012A3F5B
	v_cmp_lt_i32_e64 s[72:73], v16, 24                         // 000000004670: D0C10048 00013110
	v_cmp_lt_i32_e64 s[74:75], v16, 25                         // 000000004678: D0C1004A 00013310
	v_cndmask_b32_e64 v92, v92, v31, s[72:73]                  // 000000004680: D100005C 01223F5C
	v_cndmask_b32_e64 v93, v93, v31, s[74:75]                  // 000000004688: D100005D 012A3F5D
	v_cmp_lt_i32_e64 s[72:73], v16, 26                         // 000000004690: D0C10048 00013510
	v_cmp_lt_i32_e64 s[74:75], v16, 27                         // 000000004698: D0C1004A 00013710
	v_cndmask_b32_e64 v94, v94, v31, s[72:73]                  // 0000000046A0: D100005E 01223F5E
	v_cndmask_b32_e64 v95, v95, v31, s[74:75]                  // 0000000046A8: D100005F 012A3F5F
	s_nop 0                                                    // 0000000046B0: BF800000
	s_cmp_lt_i32 s52, s54                                      // 0000000046B4: BF043634
	s_cbranch_scc1 label_0532                                  // 0000000046B8: BF850043
	s_sub_i32 s40, s7, s52                                     // 0000000046BC: 81A83407
	v_sub_i32 v16, s40, v30                                    // 0000000046C0: D29D0010 00023C28
	v_cmp_lt_i32_e64 s[72:73], 0, v16                          // 0000000046C8: D0C10048 00022080
	v_cmp_lt_i32_e64 s[74:75], 1, v16                          // 0000000046D0: D0C1004A 00022081
	v_cndmask_b32_e64 v80, v31, v80, s[72:73]                  // 0000000046D8: D1000050 0122A11F
	v_cndmask_b32_e64 v81, v31, v81, s[74:75]                  // 0000000046E0: D1000051 012AA31F
	v_cmp_lt_i32_e64 s[72:73], 2, v16                          // 0000000046E8: D0C10048 00022082
	v_cmp_lt_i32_e64 s[74:75], 3, v16                          // 0000000046F0: D0C1004A 00022083
	v_cndmask_b32_e64 v82, v31, v82, s[72:73]                  // 0000000046F8: D1000052 0122A51F
	v_cndmask_b32_e64 v83, v31, v83, s[74:75]                  // 000000004700: D1000053 012AA71F
	v_cmp_lt_i32_e64 s[72:73], 8, v16                          // 000000004708: D0C10048 00022088
	v_cmp_lt_i32_e64 s[74:75], 9, v16                          // 000000004710: D0C1004A 00022089
	v_cndmask_b32_e64 v84, v31, v84, s[72:73]                  // 000000004718: D1000054 0122A91F
	v_cndmask_b32_e64 v85, v31, v85, s[74:75]                  // 000000004720: D1000055 012AAB1F
	v_cmp_lt_i32_e64 s[72:73], 10, v16                         // 000000004728: D0C10048 0002208A
	v_cmp_lt_i32_e64 s[74:75], 11, v16                         // 000000004730: D0C1004A 0002208B
	v_cndmask_b32_e64 v86, v31, v86, s[72:73]                  // 000000004738: D1000056 0122AD1F
	v_cndmask_b32_e64 v87, v31, v87, s[74:75]                  // 000000004740: D1000057 012AAF1F
	v_cmp_lt_i32_e64 s[72:73], 16, v16                         // 000000004748: D0C10048 00022090
	v_cmp_lt_i32_e64 s[74:75], 17, v16                         // 000000004750: D0C1004A 00022091
	v_cndmask_b32_e64 v88, v31, v88, s[72:73]                  // 000000004758: D1000058 0122B11F
	v_cndmask_b32_e64 v89, v31, v89, s[74:75]                  // 000000004760: D1000059 012AB31F
	v_cmp_lt_i32_e64 s[72:73], 18, v16                         // 000000004768: D0C10048 00022092
	v_cmp_lt_i32_e64 s[74:75], 19, v16                         // 000000004770: D0C1004A 00022093
	v_cndmask_b32_e64 v90, v31, v90, s[72:73]                  // 000000004778: D100005A 0122B51F
	v_cndmask_b32_e64 v91, v31, v91, s[74:75]                  // 000000004780: D100005B 012AB71F
	v_cmp_lt_i32_e64 s[72:73], 24, v16                         // 000000004788: D0C10048 00022098
	v_cmp_lt_i32_e64 s[74:75], 25, v16                         // 000000004790: D0C1004A 00022099
	v_cndmask_b32_e64 v92, v31, v92, s[72:73]                  // 000000004798: D100005C 0122B91F
	v_cndmask_b32_e64 v93, v31, v93, s[74:75]                  // 0000000047A0: D100005D 012ABB1F
	v_cmp_lt_i32_e64 s[72:73], 26, v16                         // 0000000047A8: D0C10048 0002209A
	v_cmp_lt_i32_e64 s[74:75], 27, v16                         // 0000000047B0: D0C1004A 0002209B
	v_cndmask_b32_e64 v94, v31, v94, s[72:73]                  // 0000000047B8: D100005E 0122BD1F
	v_cndmask_b32_e64 v95, v31, v95, s[74:75]                  // 0000000047C0: D100005F 012ABF1F

00000000000047c8 <label_0532>:
	s_waitcnt lgkmcnt(0)                                       // 0000000047C8: BF8CC07F
	s_barrier                                                  // 0000000047CC: BF8A0000
	v_max3_f32 v25, v80, v81, v28                              // 0000000047D0: D1D30019 0472A350
	v_max3_f32 v25, v82, v83, v25                              // 0000000047D8: D1D30019 0466A752
	v_max3_f32 v25, v84, v85, v25                              // 0000000047E0: D1D30019 0466AB54
	v_max3_f32 v25, v86, v87, v25                              // 0000000047E8: D1D30019 0466AF56
	v_max3_f32 v25, v88, v89, v25                              // 0000000047F0: D1D30019 0466B358
	v_max3_f32 v25, v90, v91, v25                              // 0000000047F8: D1D30019 0466B75A
	v_max3_f32 v25, v92, v93, v25                              // 000000004800: D1D30019 0466BB5C
	v_max3_f32 v25, v94, v95, v25                              // 000000004808: D1D30019 0466BF5E
	v_mfma_f32_32x32x8_bf16 v[96:111], v[192:193], v[64:65], v[96:111]// 000000004810: D3E00060 058281C0
	ds_permute_b32 v24, v32, v25                               // 000000004818: D87C0000 18001920
	v_mfma_f32_32x32x8_bf16 v[96:111], v[194:195], v[66:67], v[96:111]// 000000004820: D3E00060 058285C2
	v_mfma_f32_32x32x8_bf16 v[96:111], v[196:197], v[68:69], v[96:111]// 000000004828: D3E00060 058289C4
	v_mfma_f32_32x32x8_bf16 v[96:111], v[198:199], v[70:71], v[96:111]// 000000004830: D3E00060 05828DC6
	v_mfma_f32_32x32x8_bf16 v[112:127], v[200:201], v[64:65], v[112:127]// 000000004838: D3E00070 05C281C8
	v_mfma_f32_32x32x8_bf16 v[112:127], v[202:203], v[66:67], v[112:127]// 000000004840: D3E00070 05C285CA
	v_mfma_f32_32x32x8_bf16 v[112:127], v[204:205], v[68:69], v[112:127]// 000000004848: D3E00070 05C289CC
	v_mfma_f32_32x32x8_bf16 v[112:127], v[206:207], v[70:71], v[112:127]// 000000004850: D3E00070 05C28DCE
	v_mfma_f32_32x32x8_bf16 v[128:143], v[208:209], v[64:65], v[128:143]// 000000004858: D3E00080 060281D0
	s_waitcnt lgkmcnt(0)                                       // 000000004860: BF8CC07F
	v_mfma_f32_32x32x8_bf16 v[128:143], v[210:211], v[66:67], v[128:143]// 000000004864: D3E00080 060285D2
	v_mfma_f32_32x32x8_bf16 v[128:143], v[212:213], v[68:69], v[128:143]// 00000000486C: D3E00080 060289D4
	v_mfma_f32_32x32x8_bf16 v[128:143], v[214:215], v[70:71], v[128:143]// 000000004874: D3E00080 06028DD6
	v_mfma_f32_32x32x8_bf16 v[144:159], v[216:217], v[64:65], v[144:159]// 00000000487C: D3E00090 064281D8
	v_mfma_f32_32x32x8_bf16 v[144:159], v[218:219], v[66:67], v[144:159]// 000000004884: D3E00090 064285DA
	v_mfma_f32_32x32x8_bf16 v[144:159], v[220:221], v[68:69], v[144:159]// 00000000488C: D3E00090 064289DC
	v_max_f32_e32 v25, v24, v25                                // 000000004894: 16323318
	v_sub_f32_e32 v20, v28, v25                                // 000000004898: 0428331C
	v_mov_b32_e32 v28, v25                                     // 00000000489C: 7E380319
	v_mul_f32_e32 v27, s56, v25                                // 0000000048A0: 0A363238
	v_mul_f32_e32 v20, s56, v20                                // 0000000048A4: 0A282838
	v_exp_f32_e32 v20, v20                                     // 0000000048A8: 7E284114
	v_add_f32_e64 v36, 0, -v27                                 // 0000000048AC: D1010024 40023680
	v_mov_b32_e32 v37, v36                                     // 0000000048B4: 7E4A0324
	v_pk_fma_f32 v[80:81], v[80:81], s[56:57], v[36:37]        // 0000000048B8: D3B04050 1C907150
	v_pk_fma_f32 v[82:83], v[82:83], s[56:57], v[36:37]        // 0000000048C0: D3B04052 1C907152
	v_pk_fma_f32 v[84:85], v[84:85], s[56:57], v[36:37]        // 0000000048C8: D3B04054 1C907154
	v_pk_fma_f32 v[86:87], v[86:87], s[56:57], v[36:37]        // 0000000048D0: D3B04056 1C907156
	v_pk_fma_f32 v[88:89], v[88:89], s[56:57], v[36:37]        // 0000000048D8: D3B04058 1C907158
	v_pk_fma_f32 v[90:91], v[90:91], s[56:57], v[36:37]        // 0000000048E0: D3B0405A 1C90715A
	v_pk_fma_f32 v[92:93], v[92:93], s[56:57], v[36:37]        // 0000000048E8: D3B0405C 1C90715C
	v_pk_fma_f32 v[94:95], v[94:95], s[56:57], v[36:37]        // 0000000048F0: D3B0405E 1C90715E
	v_mfma_f32_32x32x8_bf16 v[144:159], v[222:223], v[70:71], v[144:159]// 0000000048F8: D3E00090 06428DDE
	s_setprio 1                                                // 000000004900: BF8F0001
	s_waitcnt vmcnt(8)                                         // 000000004904: BF8C0F78
	s_barrier                                                  // 000000004908: BF8A0000
	v_mov_b32_e32 v21, v20                                     // 00000000490C: 7E2A0314
	v_mul_f32_e32 v96, v20, v96                                // 000000004910: 0AC0C114
	v_mul_f32_e32 v97, v20, v97                                // 000000004914: 0AC2C314
	v_pk_mul_f32 v[98:99], v[20:21], v[98:99]                  // 000000004918: D3B14062 1802C514
	v_pk_mul_f32 v[100:101], v[20:21], v[100:101]              // 000000004920: D3B14064 1802C914
	v_pk_mul_f32 v[102:103], v[20:21], v[102:103]              // 000000004928: D3B14066 1802CD14
	v_pk_mul_f32 v[104:105], v[20:21], v[104:105]              // 000000004930: D3B14068 1802D114
	v_pk_mul_f32 v[106:107], v[20:21], v[106:107]              // 000000004938: D3B1406A 1802D514
	v_pk_mul_f32 v[108:109], v[20:21], v[108:109]              // 000000004940: D3B1406C 1802D914
	v_pk_mul_f32 v[110:111], v[20:21], v[110:111]              // 000000004948: D3B1406E 1802DD14
	v_pk_mul_f32 v[112:113], v[20:21], v[112:113]              // 000000004950: D3B14070 1802E114
	v_pk_mul_f32 v[114:115], v[20:21], v[114:115]              // 000000004958: D3B14072 1802E514
	v_pk_mul_f32 v[116:117], v[20:21], v[116:117]              // 000000004960: D3B14074 1802E914
	v_pk_mul_f32 v[118:119], v[20:21], v[118:119]              // 000000004968: D3B14076 1802ED14
	v_pk_mul_f32 v[120:121], v[20:21], v[120:121]              // 000000004970: D3B14078 1802F114
	v_pk_mul_f32 v[122:123], v[20:21], v[122:123]              // 000000004978: D3B1407A 1802F514
	v_pk_mul_f32 v[124:125], v[20:21], v[124:125]              // 000000004980: D3B1407C 1802F914
	v_pk_mul_f32 v[126:127], v[20:21], v[126:127]              // 000000004988: D3B1407E 1802FD14
	v_pk_mul_f32 v[128:129], v[20:21], v[128:129]              // 000000004990: D3B14080 18030114
	v_pk_mul_f32 v[130:131], v[20:21], v[130:131]              // 000000004998: D3B14082 18030514
	v_pk_mul_f32 v[132:133], v[20:21], v[132:133]              // 0000000049A0: D3B14084 18030914
	v_pk_mul_f32 v[134:135], v[20:21], v[134:135]              // 0000000049A8: D3B14086 18030D14
	v_pk_mul_f32 v[136:137], v[20:21], v[136:137]              // 0000000049B0: D3B14088 18031114
	v_pk_mul_f32 v[138:139], v[20:21], v[138:139]              // 0000000049B8: D3B1408A 18031514
	v_pk_mul_f32 v[140:141], v[20:21], v[140:141]              // 0000000049C0: D3B1408C 18031914
	v_pk_mul_f32 v[142:143], v[20:21], v[142:143]              // 0000000049C8: D3B1408E 18031D14
	v_pk_mul_f32 v[144:145], v[20:21], v[144:145]              // 0000000049D0: D3B14090 18032114
	v_pk_mul_f32 v[146:147], v[20:21], v[146:147]              // 0000000049D8: D3B14092 18032514
	v_pk_mul_f32 v[148:149], v[20:21], v[148:149]              // 0000000049E0: D3B14094 18032914
	v_pk_mul_f32 v[150:151], v[20:21], v[150:151]              // 0000000049E8: D3B14096 18032D14
	v_pk_mul_f32 v[152:153], v[20:21], v[152:153]              // 0000000049F0: D3B14098 18033114
	v_pk_mul_f32 v[154:155], v[20:21], v[154:155]              // 0000000049F8: D3B1409A 18033514
	v_pk_mul_f32 v[156:157], v[20:21], v[156:157]              // 000000004A00: D3B1409C 18033914
	v_pk_mul_f32 v[158:159], v[20:21], v[158:159]              // 000000004A08: D3B1409E 18033D14
	s_setprio 0                                                // 000000004A10: BF8F0000
	s_nop 15                                                   // 000000004A14: BF80000F
	s_nop 7                                                    // 000000004A18: BF800007
	buffer_load_dword v224, v8, s[16:19], s35 offen            // 000000004A1C: E0501000 2304E008
	buffer_load_dword v225, v9, s[16:19], s35 offen            // 000000004A24: E0501000 2304E109
	buffer_load_dword v226, v10, s[16:19], s35 offen           // 000000004A2C: E0501000 2304E20A
	buffer_load_dword v227, v11, s[16:19], s35 offen           // 000000004A34: E0501000 2304E30B
	s_add_i32 s35, s44, s35                                    // 000000004A3C: 8123232C
	s_nop 0                                                    // 000000004A40: BF800000
	s_add_u32 s40, 0x60, s39                                   // 000000004A44: 802827FF 00000060
	s_nop 0                                                    // 000000004A4C: BF800000
	s_cmp_lt_u32 s40, s38                                      // 000000004A50: BF0A2628
	s_cselect_b32 s44, s44, 0                                  // 000000004A54: 852C802C
	s_nop 0                                                    // 000000004A58: BF800000
	ds_read_b128 v[192:195], v12                               // 000000004A5C: D9FE0000 C000000C
	ds_read_b128 v[196:199], v12 offset:32                     // 000000004A64: D9FE0020 C400000C
	ds_read_b128 v[200:203], v12 offset:64                     // 000000004A6C: D9FE0040 C800000C
	ds_read_b128 v[204:207], v12 offset:96                     // 000000004A74: D9FE0060 CC00000C
	ds_read_b128 v[208:211], v12 offset:128                    // 000000004A7C: D9FE0080 D000000C
	ds_read_b128 v[212:215], v12 offset:160                    // 000000004A84: D9FE00A0 D400000C
	ds_read_b128 v[216:219], v12 offset:192                    // 000000004A8C: D9FE00C0 D800000C
	ds_read_b128 v[220:223], v12 offset:224                    // 000000004A94: D9FE00E0 DC00000C
	s_add_i32 s52, s52, s53                                    // 000000004A9C: 81343534
	s_addk_i32 s39, 0x20                                       // 000000004AA0: B7270020
	s_cmp_lt_i32 s39, s38                                      // 000000004AA4: BF042627
	s_nop 0                                                    // 000000004AA8: BF800000
	s_cbranch_scc0 label_0B96                                  // 000000004AAC: BF8405AA
	s_waitcnt lgkmcnt(0)                                       // 000000004AB0: BF8CC07F
	v_pk_add_f32 v[16:17], v[96:97], v[96:97]                  // 000000004AB4: D3B24010 1802C160
	v_mfma_f32_32x32x8_bf16 v[64:79], v[192:193], v[160:161], 0// 000000004ABC: D3E00040 020341C0
	v_mfma_f32_32x32x8_bf16 v[64:79], v[194:195], v[162:163], v[64:79]// 000000004AC4: D3E00040 050345C2
	v_mfma_f32_32x32x8_bf16 v[64:79], v[196:197], v[164:165], v[64:79]// 000000004ACC: D3E00040 050349C4
	v_mfma_f32_32x32x8_bf16 v[64:79], v[198:199], v[166:167], v[64:79]// 000000004AD4: D3E00040 05034DC6
	v_mfma_f32_32x32x8_bf16 v[64:79], v[200:201], v[168:169], v[64:79]// 000000004ADC: D3E00040 050351C8
	v_mfma_f32_32x32x8_bf16 v[64:79], v[202:203], v[170:171], v[64:79]// 000000004AE4: D3E00040 050355CA
	v_mfma_f32_32x32x8_bf16 v[64:79], v[204:205], v[172:173], v[64:79]// 000000004AEC: D3E00040 050359CC
	v_mfma_f32_32x32x8_bf16 v[64:79], v[206:207], v[174:175], v[64:79]// 000000004AF4: D3E00040 05035DCE
	v_mfma_f32_32x32x8_bf16 v[64:79], v[208:209], v[176:177], v[64:79]// 000000004AFC: D3E00040 050361D0
	v_mfma_f32_32x32x8_bf16 v[64:79], v[210:211], v[178:179], v[64:79]// 000000004B04: D3E00040 050365D2
	v_mfma_f32_32x32x8_bf16 v[64:79], v[212:213], v[180:181], v[64:79]// 000000004B0C: D3E00040 050369D4
	v_mfma_f32_32x32x8_bf16 v[64:79], v[214:215], v[182:183], v[64:79]// 000000004B14: D3E00040 05036DD6
	v_mfma_f32_32x32x8_bf16 v[64:79], v[216:217], v[184:185], v[64:79]// 000000004B1C: D3E00040 050371D8
	v_mfma_f32_32x32x8_bf16 v[64:79], v[218:219], v[186:187], v[64:79]// 000000004B24: D3E00040 050375DA
	v_mfma_f32_32x32x8_bf16 v[64:79], v[220:221], v[188:189], v[64:79]// 000000004B2C: D3E00040 050379DC
	v_exp_f32_e32 v80, v80                                     // 000000004B34: 7EA04150
	v_exp_f32_e32 v81, v81                                     // 000000004B38: 7EA24151
	v_exp_f32_e32 v82, v82                                     // 000000004B3C: 7EA44152
	v_exp_f32_e32 v83, v83                                     // 000000004B40: 7EA64153
	v_exp_f32_e32 v84, v84                                     // 000000004B44: 7EA84154
	v_exp_f32_e32 v85, v85                                     // 000000004B48: 7EAA4155
	v_exp_f32_e32 v86, v86                                     // 000000004B4C: 7EAC4156
	v_exp_f32_e32 v87, v87                                     // 000000004B50: 7EAE4157
	v_exp_f32_e32 v88, v88                                     // 000000004B54: 7EB04158
	v_exp_f32_e32 v89, v89                                     // 000000004B58: 7EB24159
	v_exp_f32_e32 v90, v90                                     // 000000004B5C: 7EB4415A
	v_exp_f32_e32 v91, v91                                     // 000000004B60: 7EB6415B
	v_exp_f32_e32 v92, v92                                     // 000000004B64: 7EB8415C
	v_exp_f32_e32 v93, v93                                     // 000000004B68: 7EBA415D
	v_exp_f32_e32 v94, v94                                     // 000000004B6C: 7EBC415E
	v_exp_f32_e32 v95, v95                                     // 000000004B70: 7EBE415F
	v_mul_f32_e32 v22, v20, v22                                // 000000004B74: 0A2C2D14
	v_pk_add_f32 v[38:39], v[80:81], v[82:83]                  // 000000004B78: D3B24026 1802A550
	v_pk_add_f32 v[38:39], v[84:85], v[38:39]                  // 000000004B80: D3B24026 18024D54
	v_pk_add_f32 v[38:39], v[86:87], v[38:39]                  // 000000004B88: D3B24026 18024D56
	v_pk_add_f32 v[38:39], v[88:89], v[38:39]                  // 000000004B90: D3B24026 18024D58
	v_pk_add_f32 v[38:39], v[90:91], v[38:39]                  // 000000004B98: D3B24026 18024D5A
	v_pk_add_f32 v[38:39], v[92:93], v[38:39]                  // 000000004BA0: D3B24026 18024D5C
	v_pk_add_f32 v[38:39], v[94:95], v[38:39]                  // 000000004BA8: D3B24026 18024D5E
	v_add_f32_e32 v38, v38, v39                                // 000000004BB0: 024C4F26
	v_add_f32_e32 v22, v38, v22                                // 000000004BB4: 022C2D26
	v_perm_b32 v80, v81, v80, s49                              // 000000004BB8: D1ED0050 00C6A151
	v_perm_b32 v81, v83, v82, s49                              // 000000004BC0: D1ED0051 00C6A553
	v_perm_b32 v82, v85, v84, s49                              // 000000004BC8: D1ED0052 00C6A955
	v_perm_b32 v83, v87, v86, s49                              // 000000004BD0: D1ED0053 00C6AD57
	v_perm_b32 v84, v89, v88, s49                              // 000000004BD8: D1ED0054 00C6B159
	v_perm_b32 v85, v91, v90, s49                              // 000000004BE0: D1ED0055 00C6B55B
	v_perm_b32 v86, v93, v92, s49                              // 000000004BE8: D1ED0056 00C6B95D
	v_perm_b32 v87, v95, v94, s49                              // 000000004BF0: D1ED0057 00C6BD5F
	v_mfma_f32_32x32x8_bf16 v[64:79], v[222:223], v[190:191], v[64:79]// 000000004BF8: D3E00040 05037DDE
	s_waitcnt vmcnt(8)                                         // 000000004C00: BF8C0F78
	s_barrier                                                  // 000000004C04: BF8A0000
	v_perm_b32 v232, v229, v228, s50                           // 000000004C08: D1ED00E8 00CBC9E5
	v_perm_b32 v234, v229, v228, s49                           // 000000004C10: D1ED00EA 00C7C9E5
	v_perm_b32 v233, v231, v230, s50                           // 000000004C18: D1ED00E9 00CBCDE7
	v_perm_b32 v235, v231, v230, s49                           // 000000004C20: D1ED00EB 00C7CDE7
	ds_write_b64 v14, v[232:233] offset:17408                  // 000000004C28: D89A4400 0000E80E
	ds_write_b64 v14, v[234:235] offset:21568                  // 000000004C30: D89A5440 0000EA0E
	s_waitcnt lgkmcnt(0)                                       // 000000004C38: BF8CC07F
	s_barrier                                                  // 000000004C3C: BF8A0000
	s_mov_b32 m0, s68                                          // 000000004C40: BEFC0044
	buffer_load_dword v4, s[12:15], s60 offen lds              // 000000004C44: E0511000 3C030004
	s_add_u32 m0, 0x880, m0                                    // 000000004C4C: 807C7CFF 00000880
	buffer_load_dword v5, s[12:15], s60 offen lds              // 000000004C54: E0511000 3C030005
	s_add_u32 m0, 0x880, m0                                    // 000000004C5C: 807C7CFF 00000880
	buffer_load_dword v6, s[12:15], s60 offen lds              // 000000004C64: E0511000 3C030006
	s_add_u32 m0, 0x880, m0                                    // 000000004C6C: 807C7CFF 00000880
	buffer_load_dword v7, s[12:15], s60 offen lds              // 000000004C74: E0511000 3C030007
	s_add_u32 m0, 0x880, m0                                    // 000000004C7C: 807C7CFF 00000880
	s_add_i32 s60, s43, s60                                    // 000000004C84: 813C3C2B
	s_nop 0                                                    // 000000004C88: BF800000
	s_add_u32 s40, 0x80, s39                                   // 000000004C8C: 802827FF 00000080
	s_nop 0                                                    // 000000004C94: BF800000
	s_cmp_lt_u32 s40, s38                                      // 000000004C98: BF0A2628
	s_cselect_b32 s43, s43, 0                                  // 000000004C9C: 852B802B
	ds_read_b64 v[192:193], v13 offset:17408                   // 000000004CA0: D8EC4400 C000000D
	ds_read_b64 v[194:195], v13 offset:18432                   // 000000004CA8: D8EC4800 C200000D
	ds_read_b64 v[196:197], v13 offset:19456                   // 000000004CB0: D8EC4C00 C400000D
	ds_read_b64 v[198:199], v13 offset:20480                   // 000000004CB8: D8EC5000 C600000D
	ds_read_b64 v[200:201], v13 offset:17536                   // 000000004CC0: D8EC4480 C800000D
	ds_read_b64 v[202:203], v13 offset:18560                   // 000000004CC8: D8EC4880 CA00000D
	ds_read_b64 v[204:205], v13 offset:19584                   // 000000004CD0: D8EC4C80 CC00000D
	ds_read_b64 v[206:207], v13 offset:20608                   // 000000004CD8: D8EC5080 CE00000D
	ds_read_b64 v[208:209], v13 offset:17664                   // 000000004CE0: D8EC4500 D000000D
	ds_read_b64 v[210:211], v13 offset:18688                   // 000000004CE8: D8EC4900 D200000D
	ds_read_b64 v[212:213], v13 offset:19712                   // 000000004CF0: D8EC4D00 D400000D
	ds_read_b64 v[214:215], v13 offset:20736                   // 000000004CF8: D8EC5100 D600000D
	ds_read_b64 v[216:217], v13 offset:17792                   // 000000004D00: D8EC4580 D800000D
	ds_read_b64 v[218:219], v13 offset:18816                   // 000000004D08: D8EC4980 DA00000D
	ds_read_b64 v[220:221], v13 offset:19840                   // 000000004D10: D8EC4D80 DC00000D
	ds_read_b64 v[222:223], v13 offset:20864                   // 000000004D18: D8EC5180 DE00000D
	s_nop 0                                                    // 000000004D20: BF800000
	s_cmp_lt_i32 s52, s51                                      // 000000004D24: BF043334
	s_cbranch_scc1 label_0718                                  // 000000004D28: BF85008D
	s_sub_i32 s40, s51, s52                                    // 000000004D2C: 81A83433
	s_sub_i32 s41, s7, s30                                     // 000000004D30: 81A91E07
	s_and_b32 s41, s41, 31                                     // 000000004D34: 86299F29
	s_add_i32 s40, s40, s41                                    // 000000004D38: 81282928
	v_add_i32 v16, v29, s40                                    // 000000004D3C: D29C0010 0000511D
	s_nop 0                                                    // 000000004D44: BF800000
	v_cmp_lt_i32_e64 s[72:73], v16, 0                          // 000000004D48: D0C10048 00010110
	v_cmp_lt_i32_e64 s[74:75], v16, 1                          // 000000004D50: D0C1004A 00010310
	v_cndmask_b32_e64 v64, v64, v31, s[72:73]                  // 000000004D58: D1000040 01223F40
	v_cndmask_b32_e64 v65, v65, v31, s[74:75]                  // 000000004D60: D1000041 012A3F41
	v_cmp_lt_i32_e64 s[72:73], v16, 2                          // 000000004D68: D0C10048 00010510
	v_cmp_lt_i32_e64 s[74:75], v16, 3                          // 000000004D70: D0C1004A 00010710
	v_cndmask_b32_e64 v66, v66, v31, s[72:73]                  // 000000004D78: D1000042 01223F42
	v_cndmask_b32_e64 v67, v67, v31, s[74:75]                  // 000000004D80: D1000043 012A3F43
	v_cmp_lt_i32_e64 s[72:73], v16, 8                          // 000000004D88: D0C10048 00011110
	v_cmp_lt_i32_e64 s[74:75], v16, 9                          // 000000004D90: D0C1004A 00011310
	v_cndmask_b32_e64 v68, v68, v31, s[72:73]                  // 000000004D98: D1000044 01223F44
	v_cndmask_b32_e64 v69, v69, v31, s[74:75]                  // 000000004DA0: D1000045 012A3F45
	v_cmp_lt_i32_e64 s[72:73], v16, 10                         // 000000004DA8: D0C10048 00011510
	v_cmp_lt_i32_e64 s[74:75], v16, 11                         // 000000004DB0: D0C1004A 00011710
	v_cndmask_b32_e64 v70, v70, v31, s[72:73]                  // 000000004DB8: D1000046 01223F46
	v_cndmask_b32_e64 v71, v71, v31, s[74:75]                  // 000000004DC0: D1000047 012A3F47
	v_cmp_lt_i32_e64 s[72:73], v16, 16                         // 000000004DC8: D0C10048 00012110
	v_cmp_lt_i32_e64 s[74:75], v16, 17                         // 000000004DD0: D0C1004A 00012310
	v_cndmask_b32_e64 v72, v72, v31, s[72:73]                  // 000000004DD8: D1000048 01223F48
	v_cndmask_b32_e64 v73, v73, v31, s[74:75]                  // 000000004DE0: D1000049 012A3F49
	v_cmp_lt_i32_e64 s[72:73], v16, 18                         // 000000004DE8: D0C10048 00012510
	v_cmp_lt_i32_e64 s[74:75], v16, 19                         // 000000004DF0: D0C1004A 00012710
	v_cndmask_b32_e64 v74, v74, v31, s[72:73]                  // 000000004DF8: D100004A 01223F4A
	v_cndmask_b32_e64 v75, v75, v31, s[74:75]                  // 000000004E00: D100004B 012A3F4B
	v_cmp_lt_i32_e64 s[72:73], v16, 24                         // 000000004E08: D0C10048 00013110
	v_cmp_lt_i32_e64 s[74:75], v16, 25                         // 000000004E10: D0C1004A 00013310
	v_cndmask_b32_e64 v76, v76, v31, s[72:73]                  // 000000004E18: D100004C 01223F4C
	v_cndmask_b32_e64 v77, v77, v31, s[74:75]                  // 000000004E20: D100004D 012A3F4D
	v_cmp_lt_i32_e64 s[72:73], v16, 26                         // 000000004E28: D0C10048 00013510
	v_cmp_lt_i32_e64 s[74:75], v16, 27                         // 000000004E30: D0C1004A 00013710
	v_cndmask_b32_e64 v78, v78, v31, s[72:73]                  // 000000004E38: D100004E 01223F4E
	v_cndmask_b32_e64 v79, v79, v31, s[74:75]                  // 000000004E40: D100004F 012A3F4F
	s_nop 0                                                    // 000000004E48: BF800000
	s_cmp_lt_i32 s52, s54                                      // 000000004E4C: BF043634
	s_cbranch_scc1 label_0718                                  // 000000004E50: BF850043
	s_sub_i32 s40, s7, s52                                     // 000000004E54: 81A83407
	v_sub_i32 v16, s40, v30                                    // 000000004E58: D29D0010 00023C28
	v_cmp_lt_i32_e64 s[72:73], 0, v16                          // 000000004E60: D0C10048 00022080
	v_cmp_lt_i32_e64 s[74:75], 1, v16                          // 000000004E68: D0C1004A 00022081
	v_cndmask_b32_e64 v64, v31, v64, s[72:73]                  // 000000004E70: D1000040 0122811F
	v_cndmask_b32_e64 v65, v31, v65, s[74:75]                  // 000000004E78: D1000041 012A831F
	v_cmp_lt_i32_e64 s[72:73], 2, v16                          // 000000004E80: D0C10048 00022082
	v_cmp_lt_i32_e64 s[74:75], 3, v16                          // 000000004E88: D0C1004A 00022083
	v_cndmask_b32_e64 v66, v31, v66, s[72:73]                  // 000000004E90: D1000042 0122851F
	v_cndmask_b32_e64 v67, v31, v67, s[74:75]                  // 000000004E98: D1000043 012A871F
	v_cmp_lt_i32_e64 s[72:73], 8, v16                          // 000000004EA0: D0C10048 00022088
	v_cmp_lt_i32_e64 s[74:75], 9, v16                          // 000000004EA8: D0C1004A 00022089
	v_cndmask_b32_e64 v68, v31, v68, s[72:73]                  // 000000004EB0: D1000044 0122891F
	v_cndmask_b32_e64 v69, v31, v69, s[74:75]                  // 000000004EB8: D1000045 012A8B1F
	v_cmp_lt_i32_e64 s[72:73], 10, v16                         // 000000004EC0: D0C10048 0002208A
	v_cmp_lt_i32_e64 s[74:75], 11, v16                         // 000000004EC8: D0C1004A 0002208B
	v_cndmask_b32_e64 v70, v31, v70, s[72:73]                  // 000000004ED0: D1000046 01228D1F
	v_cndmask_b32_e64 v71, v31, v71, s[74:75]                  // 000000004ED8: D1000047 012A8F1F
	v_cmp_lt_i32_e64 s[72:73], 16, v16                         // 000000004EE0: D0C10048 00022090
	v_cmp_lt_i32_e64 s[74:75], 17, v16                         // 000000004EE8: D0C1004A 00022091
	v_cndmask_b32_e64 v72, v31, v72, s[72:73]                  // 000000004EF0: D1000048 0122911F
	v_cndmask_b32_e64 v73, v31, v73, s[74:75]                  // 000000004EF8: D1000049 012A931F
	v_cmp_lt_i32_e64 s[72:73], 18, v16                         // 000000004F00: D0C10048 00022092
	v_cmp_lt_i32_e64 s[74:75], 19, v16                         // 000000004F08: D0C1004A 00022093
	v_cndmask_b32_e64 v74, v31, v74, s[72:73]                  // 000000004F10: D100004A 0122951F
	v_cndmask_b32_e64 v75, v31, v75, s[74:75]                  // 000000004F18: D100004B 012A971F
	v_cmp_lt_i32_e64 s[72:73], 24, v16                         // 000000004F20: D0C10048 00022098
	v_cmp_lt_i32_e64 s[74:75], 25, v16                         // 000000004F28: D0C1004A 00022099
	v_cndmask_b32_e64 v76, v31, v76, s[72:73]                  // 000000004F30: D100004C 0122991F
	v_cndmask_b32_e64 v77, v31, v77, s[74:75]                  // 000000004F38: D100004D 012A9B1F
	v_cmp_lt_i32_e64 s[72:73], 26, v16                         // 000000004F40: D0C10048 0002209A
	v_cmp_lt_i32_e64 s[74:75], 27, v16                         // 000000004F48: D0C1004A 0002209B
	v_cndmask_b32_e64 v78, v31, v78, s[72:73]                  // 000000004F50: D100004E 01229D1F
	v_cndmask_b32_e64 v79, v31, v79, s[74:75]                  // 000000004F58: D100004F 012A9F1F

0000000000004f60 <label_0718>:
	s_waitcnt lgkmcnt(0)                                       // 000000004F60: BF8CC07F
	s_barrier                                                  // 000000004F64: BF8A0000
	v_max3_f32 v25, v64, v65, v28                              // 000000004F68: D1D30019 04728340
	v_max3_f32 v25, v66, v67, v25                              // 000000004F70: D1D30019 04668742
	v_max3_f32 v25, v68, v69, v25                              // 000000004F78: D1D30019 04668B44
	v_max3_f32 v25, v70, v71, v25                              // 000000004F80: D1D30019 04668F46
	v_max3_f32 v25, v72, v73, v25                              // 000000004F88: D1D30019 04669348
	v_max3_f32 v25, v74, v75, v25                              // 000000004F90: D1D30019 0466974A
	v_max3_f32 v25, v76, v77, v25                              // 000000004F98: D1D30019 04669B4C
	v_max3_f32 v25, v78, v79, v25                              // 000000004FA0: D1D30019 04669F4E
	v_mfma_f32_32x32x8_bf16 v[96:111], v[192:193], v[80:81], v[96:111]// 000000004FA8: D3E00060 0582A1C0
	ds_permute_b32 v24, v32, v25                               // 000000004FB0: D87C0000 18001920
	v_mfma_f32_32x32x8_bf16 v[96:111], v[194:195], v[82:83], v[96:111]// 000000004FB8: D3E00060 0582A5C2
	v_mfma_f32_32x32x8_bf16 v[96:111], v[196:197], v[84:85], v[96:111]// 000000004FC0: D3E00060 0582A9C4
	v_mfma_f32_32x32x8_bf16 v[96:111], v[198:199], v[86:87], v[96:111]// 000000004FC8: D3E00060 0582ADC6
	v_mfma_f32_32x32x8_bf16 v[112:127], v[200:201], v[80:81], v[112:127]// 000000004FD0: D3E00070 05C2A1C8
	v_mfma_f32_32x32x8_bf16 v[112:127], v[202:203], v[82:83], v[112:127]// 000000004FD8: D3E00070 05C2A5CA
	v_mfma_f32_32x32x8_bf16 v[112:127], v[204:205], v[84:85], v[112:127]// 000000004FE0: D3E00070 05C2A9CC
	v_mfma_f32_32x32x8_bf16 v[112:127], v[206:207], v[86:87], v[112:127]// 000000004FE8: D3E00070 05C2ADCE
	v_mfma_f32_32x32x8_bf16 v[128:143], v[208:209], v[80:81], v[128:143]// 000000004FF0: D3E00080 0602A1D0
	s_waitcnt lgkmcnt(0)                                       // 000000004FF8: BF8CC07F
	v_mfma_f32_32x32x8_bf16 v[128:143], v[210:211], v[82:83], v[128:143]// 000000004FFC: D3E00080 0602A5D2
	v_mfma_f32_32x32x8_bf16 v[128:143], v[212:213], v[84:85], v[128:143]// 000000005004: D3E00080 0602A9D4
	v_mfma_f32_32x32x8_bf16 v[128:143], v[214:215], v[86:87], v[128:143]// 00000000500C: D3E00080 0602ADD6
	v_mfma_f32_32x32x8_bf16 v[144:159], v[216:217], v[80:81], v[144:159]// 000000005014: D3E00090 0642A1D8
	v_mfma_f32_32x32x8_bf16 v[144:159], v[218:219], v[82:83], v[144:159]// 00000000501C: D3E00090 0642A5DA
	v_mfma_f32_32x32x8_bf16 v[144:159], v[220:221], v[84:85], v[144:159]// 000000005024: D3E00090 0642A9DC
	v_max_f32_e32 v25, v24, v25                                // 00000000502C: 16323318
	v_sub_f32_e32 v20, v28, v25                                // 000000005030: 0428331C
	v_mov_b32_e32 v28, v25                                     // 000000005034: 7E380319
	v_mul_f32_e32 v27, s56, v25                                // 000000005038: 0A363238
	v_mul_f32_e32 v20, s56, v20                                // 00000000503C: 0A282838
	v_exp_f32_e32 v20, v20                                     // 000000005040: 7E284114
	v_add_f32_e64 v36, 0, -v27                                 // 000000005044: D1010024 40023680
	v_mov_b32_e32 v37, v36                                     // 00000000504C: 7E4A0324
	v_pk_fma_f32 v[64:65], v[64:65], s[56:57], v[36:37]        // 000000005050: D3B04040 1C907140
	v_pk_fma_f32 v[66:67], v[66:67], s[56:57], v[36:37]        // 000000005058: D3B04042 1C907142
	v_pk_fma_f32 v[68:69], v[68:69], s[56:57], v[36:37]        // 000000005060: D3B04044 1C907144
	v_pk_fma_f32 v[70:71], v[70:71], s[56:57], v[36:37]        // 000000005068: D3B04046 1C907146
	v_pk_fma_f32 v[72:73], v[72:73], s[56:57], v[36:37]        // 000000005070: D3B04048 1C907148
	v_pk_fma_f32 v[74:75], v[74:75], s[56:57], v[36:37]        // 000000005078: D3B0404A 1C90714A
	v_pk_fma_f32 v[76:77], v[76:77], s[56:57], v[36:37]        // 000000005080: D3B0404C 1C90714C
	v_pk_fma_f32 v[78:79], v[78:79], s[56:57], v[36:37]        // 000000005088: D3B0404E 1C90714E
	v_mfma_f32_32x32x8_bf16 v[144:159], v[222:223], v[86:87], v[144:159]// 000000005090: D3E00090 0642ADDE
	s_setprio 1                                                // 000000005098: BF8F0001
	s_waitcnt vmcnt(8)                                         // 00000000509C: BF8C0F78
	s_barrier                                                  // 0000000050A0: BF8A0000
	v_mov_b32_e32 v21, v20                                     // 0000000050A4: 7E2A0314
	v_mul_f32_e32 v96, v20, v96                                // 0000000050A8: 0AC0C114
	v_mul_f32_e32 v97, v20, v97                                // 0000000050AC: 0AC2C314
	v_pk_mul_f32 v[98:99], v[20:21], v[98:99]                  // 0000000050B0: D3B14062 1802C514
	v_pk_mul_f32 v[100:101], v[20:21], v[100:101]              // 0000000050B8: D3B14064 1802C914
	v_pk_mul_f32 v[102:103], v[20:21], v[102:103]              // 0000000050C0: D3B14066 1802CD14
	v_pk_mul_f32 v[104:105], v[20:21], v[104:105]              // 0000000050C8: D3B14068 1802D114
	v_pk_mul_f32 v[106:107], v[20:21], v[106:107]              // 0000000050D0: D3B1406A 1802D514
	v_pk_mul_f32 v[108:109], v[20:21], v[108:109]              // 0000000050D8: D3B1406C 1802D914
	v_pk_mul_f32 v[110:111], v[20:21], v[110:111]              // 0000000050E0: D3B1406E 1802DD14
	v_pk_mul_f32 v[112:113], v[20:21], v[112:113]              // 0000000050E8: D3B14070 1802E114
	v_pk_mul_f32 v[114:115], v[20:21], v[114:115]              // 0000000050F0: D3B14072 1802E514
	v_pk_mul_f32 v[116:117], v[20:21], v[116:117]              // 0000000050F8: D3B14074 1802E914
	v_pk_mul_f32 v[118:119], v[20:21], v[118:119]              // 000000005100: D3B14076 1802ED14
	v_pk_mul_f32 v[120:121], v[20:21], v[120:121]              // 000000005108: D3B14078 1802F114
	v_pk_mul_f32 v[122:123], v[20:21], v[122:123]              // 000000005110: D3B1407A 1802F514
	v_pk_mul_f32 v[124:125], v[20:21], v[124:125]              // 000000005118: D3B1407C 1802F914
	v_pk_mul_f32 v[126:127], v[20:21], v[126:127]              // 000000005120: D3B1407E 1802FD14
	v_pk_mul_f32 v[128:129], v[20:21], v[128:129]              // 000000005128: D3B14080 18030114
	v_pk_mul_f32 v[130:131], v[20:21], v[130:131]              // 000000005130: D3B14082 18030514
	v_pk_mul_f32 v[132:133], v[20:21], v[132:133]              // 000000005138: D3B14084 18030914
	v_pk_mul_f32 v[134:135], v[20:21], v[134:135]              // 000000005140: D3B14086 18030D14
	v_pk_mul_f32 v[136:137], v[20:21], v[136:137]              // 000000005148: D3B14088 18031114
	v_pk_mul_f32 v[138:139], v[20:21], v[138:139]              // 000000005150: D3B1408A 18031514
	v_pk_mul_f32 v[140:141], v[20:21], v[140:141]              // 000000005158: D3B1408C 18031914
	v_pk_mul_f32 v[142:143], v[20:21], v[142:143]              // 000000005160: D3B1408E 18031D14
	v_pk_mul_f32 v[144:145], v[20:21], v[144:145]              // 000000005168: D3B14090 18032114
	v_pk_mul_f32 v[146:147], v[20:21], v[146:147]              // 000000005170: D3B14092 18032514
	v_pk_mul_f32 v[148:149], v[20:21], v[148:149]              // 000000005178: D3B14094 18032914
	v_pk_mul_f32 v[150:151], v[20:21], v[150:151]              // 000000005180: D3B14096 18032D14
	v_pk_mul_f32 v[152:153], v[20:21], v[152:153]              // 000000005188: D3B14098 18033114
	v_pk_mul_f32 v[154:155], v[20:21], v[154:155]              // 000000005190: D3B1409A 18033514
	v_pk_mul_f32 v[156:157], v[20:21], v[156:157]              // 000000005198: D3B1409C 18033914
	v_pk_mul_f32 v[158:159], v[20:21], v[158:159]              // 0000000051A0: D3B1409E 18033D14
	s_nop 0                                                    // 0000000051A8: BF800000
	s_setprio 0                                                // 0000000051AC: BF8F0000
	s_nop 15                                                   // 0000000051B0: BF80000F
	s_nop 7                                                    // 0000000051B4: BF800007
	buffer_load_dword v228, v8, s[16:19], s35 offen            // 0000000051B8: E0501000 2304E408
	buffer_load_dword v229, v9, s[16:19], s35 offen            // 0000000051C0: E0501000 2304E509
	buffer_load_dword v230, v10, s[16:19], s35 offen           // 0000000051C8: E0501000 2304E60A
	buffer_load_dword v231, v11, s[16:19], s35 offen           // 0000000051D0: E0501000 2304E70B
	s_add_i32 s35, s44, s35                                    // 0000000051D8: 8123232C
	s_nop 0                                                    // 0000000051DC: BF800000
	s_add_u32 s40, 0x60, s39                                   // 0000000051E0: 802827FF 00000060
	s_nop 0                                                    // 0000000051E8: BF800000
	s_cmp_lt_u32 s40, s38                                      // 0000000051EC: BF0A2628
	s_cselect_b32 s44, s44, 0                                  // 0000000051F0: 852C802C
	s_nop 0                                                    // 0000000051F4: BF800000
	ds_read_b128 v[192:195], v12 offset:8704                   // 0000000051F8: D9FE2200 C000000C
	ds_read_b128 v[196:199], v12 offset:8736                   // 000000005200: D9FE2220 C400000C
	ds_read_b128 v[200:203], v12 offset:8768                   // 000000005208: D9FE2240 C800000C
	ds_read_b128 v[204:207], v12 offset:8800                   // 000000005210: D9FE2260 CC00000C
	ds_read_b128 v[208:211], v12 offset:8832                   // 000000005218: D9FE2280 D000000C
	ds_read_b128 v[212:215], v12 offset:8864                   // 000000005220: D9FE22A0 D400000C
	ds_read_b128 v[216:219], v12 offset:8896                   // 000000005228: D9FE22C0 D800000C
	ds_read_b128 v[220:223], v12 offset:8928                   // 000000005230: D9FE22E0 DC00000C
	s_add_i32 s52, s52, s53                                    // 000000005238: 81343534
	s_addk_i32 s39, 0x20                                       // 00000000523C: B7270020
	s_cmp_lt_i32 s39, s38                                      // 000000005240: BF042627
	s_nop 0                                                    // 000000005244: BF800000
	s_cbranch_scc0 label_0B96                                  // 000000005248: BF8403C3
	s_branch label_0406                                        // 00000000524C: BF82FC32

0000000000005250 <label_07D4>:
	s_setprio 1                                                // 000000005250: BF8F0001
	s_barrier                                                  // 000000005254: BF8A0000

0000000000005258 <label_07D6>:
	buffer_load_dword v228, v8, s[16:19], s35 offen            // 000000005258: E0501000 2304E408
	buffer_load_dword v229, v9, s[16:19], s35 offen            // 000000005260: E0501000 2304E509
	buffer_load_dword v230, v10, s[16:19], s35 offen           // 000000005268: E0501000 2304E60A
	buffer_load_dword v231, v11, s[16:19], s35 offen           // 000000005270: E0501000 2304E70B
	s_add_i32 s35, s44, s35                                    // 000000005278: 8123232C
	s_nop 0                                                    // 00000000527C: BF800000
	s_add_u32 s40, 64, s39                                     // 000000005280: 802827C0
	s_nop 0                                                    // 000000005284: BF800000
	s_cmp_lt_u32 s40, s38                                      // 000000005288: BF0A2628
	s_cselect_b32 s44, s44, 0                                  // 00000000528C: 852C802C
	ds_read_b128 v[192:195], v12 offset:8704                   // 000000005290: D9FE2200 C000000C
	ds_read_b128 v[196:199], v12 offset:8736                   // 000000005298: D9FE2220 C400000C
	ds_read_b128 v[200:203], v12 offset:8768                   // 0000000052A0: D9FE2240 C800000C
	ds_read_b128 v[204:207], v12 offset:8800                   // 0000000052A8: D9FE2260 CC00000C
	ds_read_b128 v[208:211], v12 offset:8832                   // 0000000052B0: D9FE2280 D000000C
	ds_read_b128 v[212:215], v12 offset:8864                   // 0000000052B8: D9FE22A0 D400000C
	ds_read_b128 v[216:219], v12 offset:8896                   // 0000000052C0: D9FE22C0 D800000C
	ds_read_b128 v[220:223], v12 offset:8928                   // 0000000052C8: D9FE22E0 DC00000C
	s_waitcnt vmcnt(8) lgkmcnt(0)                              // 0000000052D0: BF8C0078
	s_barrier                                                  // 0000000052D4: BF8A0000
	v_perm_b32 v232, v225, v224, s50                           // 0000000052D8: D1ED00E8 00CBC1E1
	v_perm_b32 v234, v225, v224, s49                           // 0000000052E0: D1ED00EA 00C7C1E1
	v_perm_b32 v233, v227, v226, s50                           // 0000000052E8: D1ED00E9 00CBC5E3
	v_perm_b32 v235, v227, v226, s49                           // 0000000052F0: D1ED00EB 00C7C5E3
	s_nop 3                                                    // 0000000052F8: BF800003
	v_mfma_f32_32x32x8_bf16 v[80:95], v[192:193], v[160:161], 0// 0000000052FC: D3E00050 020341C0
	ds_write_b64 v14, v[232:233] offset:17408                  // 000000005304: D89A4400 0000E80E
	v_mfma_f32_32x32x8_bf16 v[80:95], v[194:195], v[162:163], v[80:95]// 00000000530C: D3E00050 054345C2
	ds_write_b64 v14, v[234:235] offset:21568                  // 000000005314: D89A5440 0000EA0E
	v_mfma_f32_32x32x8_bf16 v[80:95], v[196:197], v[164:165], v[80:95]// 00000000531C: D3E00050 054349C4
	v_mfma_f32_32x32x8_bf16 v[80:95], v[198:199], v[166:167], v[80:95]// 000000005324: D3E00050 05434DC6
	v_mfma_f32_32x32x8_bf16 v[80:95], v[200:201], v[168:169], v[80:95]// 00000000532C: D3E00050 054351C8
	v_mfma_f32_32x32x8_bf16 v[80:95], v[202:203], v[170:171], v[80:95]// 000000005334: D3E00050 054355CA
	v_mfma_f32_32x32x8_bf16 v[80:95], v[204:205], v[172:173], v[80:95]// 00000000533C: D3E00050 054359CC
	s_waitcnt lgkmcnt(0)                                       // 000000005344: BF8CC07F
	s_barrier                                                  // 000000005348: BF8A0000
	v_mfma_f32_32x32x8_bf16 v[80:95], v[206:207], v[174:175], v[80:95]// 00000000534C: D3E00050 05435DCE
	v_mfma_f32_32x32x8_bf16 v[80:95], v[208:209], v[176:177], v[80:95]// 000000005354: D3E00050 054361D0
	v_mfma_f32_32x32x8_bf16 v[80:95], v[210:211], v[178:179], v[80:95]// 00000000535C: D3E00050 054365D2
	v_mfma_f32_32x32x8_bf16 v[80:95], v[212:213], v[180:181], v[80:95]// 000000005364: D3E00050 054369D4
	v_mfma_f32_32x32x8_bf16 v[80:95], v[214:215], v[182:183], v[80:95]// 00000000536C: D3E00050 05436DD6
	v_mfma_f32_32x32x8_bf16 v[80:95], v[216:217], v[184:185], v[80:95]// 000000005374: D3E00050 054371D8
	v_mfma_f32_32x32x8_bf16 v[80:95], v[218:219], v[186:187], v[80:95]// 00000000537C: D3E00050 054375DA
	v_mfma_f32_32x32x8_bf16 v[80:95], v[220:221], v[188:189], v[80:95]// 000000005384: D3E00050 054379DC
	v_exp_f32_e32 v64, v64                                     // 00000000538C: 7E804140
	v_exp_f32_e32 v65, v65                                     // 000000005390: 7E824141
	v_exp_f32_e32 v66, v66                                     // 000000005394: 7E844142
	v_exp_f32_e32 v67, v67                                     // 000000005398: 7E864143
	v_exp_f32_e32 v68, v68                                     // 00000000539C: 7E884144
	v_exp_f32_e32 v69, v69                                     // 0000000053A0: 7E8A4145
	v_exp_f32_e32 v70, v70                                     // 0000000053A4: 7E8C4146
	v_exp_f32_e32 v71, v71                                     // 0000000053A8: 7E8E4147
	v_exp_f32_e32 v72, v72                                     // 0000000053AC: 7E904148
	v_exp_f32_e32 v73, v73                                     // 0000000053B0: 7E924149
	v_exp_f32_e32 v74, v74                                     // 0000000053B4: 7E94414A
	v_exp_f32_e32 v75, v75                                     // 0000000053B8: 7E96414B
	v_exp_f32_e32 v76, v76                                     // 0000000053BC: 7E98414C
	v_exp_f32_e32 v77, v77                                     // 0000000053C0: 7E9A414D
	v_exp_f32_e32 v78, v78                                     // 0000000053C4: 7E9C414E
	v_exp_f32_e32 v79, v79                                     // 0000000053C8: 7E9E414F
	v_mul_f32_e32 v22, v20, v22                                // 0000000053CC: 0A2C2D14
	v_pk_add_f32 v[38:39], v[64:65], v[66:67]                  // 0000000053D0: D3B24026 18028540
	v_pk_add_f32 v[38:39], v[68:69], v[38:39]                  // 0000000053D8: D3B24026 18024D44
	v_pk_add_f32 v[38:39], v[70:71], v[38:39]                  // 0000000053E0: D3B24026 18024D46
	v_pk_add_f32 v[38:39], v[72:73], v[38:39]                  // 0000000053E8: D3B24026 18024D48
	v_pk_add_f32 v[38:39], v[74:75], v[38:39]                  // 0000000053F0: D3B24026 18024D4A
	v_pk_add_f32 v[38:39], v[76:77], v[38:39]                  // 0000000053F8: D3B24026 18024D4C
	v_pk_add_f32 v[38:39], v[78:79], v[38:39]                  // 000000005400: D3B24026 18024D4E
	v_add_f32_e32 v38, v38, v39                                // 000000005408: 024C4F26
	v_add_f32_e32 v22, v38, v22                                // 00000000540C: 022C2D26
	v_perm_b32 v64, v65, v64, s49                              // 000000005410: D1ED0040 00C68141
	v_perm_b32 v65, v67, v66, s49                              // 000000005418: D1ED0041 00C68543
	v_perm_b32 v66, v69, v68, s49                              // 000000005420: D1ED0042 00C68945
	v_perm_b32 v67, v71, v70, s49                              // 000000005428: D1ED0043 00C68D47
	v_perm_b32 v68, v73, v72, s49                              // 000000005430: D1ED0044 00C69149
	v_perm_b32 v69, v75, v74, s49                              // 000000005438: D1ED0045 00C6954B
	v_perm_b32 v70, v77, v76, s49                              // 000000005440: D1ED0046 00C6994D
	v_perm_b32 v71, v79, v78, s49                              // 000000005448: D1ED0047 00C69D4F
	v_mfma_f32_32x32x8_bf16 v[80:95], v[222:223], v[190:191], v[80:95]// 000000005450: D3E00050 05437DDE
	s_barrier                                                  // 000000005458: BF8A0000
	s_cmp_lt_i32 s52, s51                                      // 00000000545C: BF043334
	s_cbranch_scc1 label_08E6                                  // 000000005460: BF85008D
	s_sub_i32 s40, s51, s52                                    // 000000005464: 81A83433
	s_sub_i32 s41, s7, s30                                     // 000000005468: 81A91E07
	s_and_b32 s41, s41, 31                                     // 00000000546C: 86299F29
	s_add_i32 s40, s40, s41                                    // 000000005470: 81282928
	v_add_i32 v16, v29, s40                                    // 000000005474: D29C0010 0000511D
	s_nop 0                                                    // 00000000547C: BF800000
	v_cmp_lt_i32_e64 s[72:73], v16, 0                          // 000000005480: D0C10048 00010110
	v_cmp_lt_i32_e64 s[74:75], v16, 1                          // 000000005488: D0C1004A 00010310
	v_cndmask_b32_e64 v80, v80, v31, s[72:73]                  // 000000005490: D1000050 01223F50
	v_cndmask_b32_e64 v81, v81, v31, s[74:75]                  // 000000005498: D1000051 012A3F51
	v_cmp_lt_i32_e64 s[72:73], v16, 2                          // 0000000054A0: D0C10048 00010510
	v_cmp_lt_i32_e64 s[74:75], v16, 3                          // 0000000054A8: D0C1004A 00010710
	v_cndmask_b32_e64 v82, v82, v31, s[72:73]                  // 0000000054B0: D1000052 01223F52
	v_cndmask_b32_e64 v83, v83, v31, s[74:75]                  // 0000000054B8: D1000053 012A3F53
	v_cmp_lt_i32_e64 s[72:73], v16, 8                          // 0000000054C0: D0C10048 00011110
	v_cmp_lt_i32_e64 s[74:75], v16, 9                          // 0000000054C8: D0C1004A 00011310
	v_cndmask_b32_e64 v84, v84, v31, s[72:73]                  // 0000000054D0: D1000054 01223F54
	v_cndmask_b32_e64 v85, v85, v31, s[74:75]                  // 0000000054D8: D1000055 012A3F55
	v_cmp_lt_i32_e64 s[72:73], v16, 10                         // 0000000054E0: D0C10048 00011510
	v_cmp_lt_i32_e64 s[74:75], v16, 11                         // 0000000054E8: D0C1004A 00011710
	v_cndmask_b32_e64 v86, v86, v31, s[72:73]                  // 0000000054F0: D1000056 01223F56
	v_cndmask_b32_e64 v87, v87, v31, s[74:75]                  // 0000000054F8: D1000057 012A3F57
	v_cmp_lt_i32_e64 s[72:73], v16, 16                         // 000000005500: D0C10048 00012110
	v_cmp_lt_i32_e64 s[74:75], v16, 17                         // 000000005508: D0C1004A 00012310
	v_cndmask_b32_e64 v88, v88, v31, s[72:73]                  // 000000005510: D1000058 01223F58
	v_cndmask_b32_e64 v89, v89, v31, s[74:75]                  // 000000005518: D1000059 012A3F59
	v_cmp_lt_i32_e64 s[72:73], v16, 18                         // 000000005520: D0C10048 00012510
	v_cmp_lt_i32_e64 s[74:75], v16, 19                         // 000000005528: D0C1004A 00012710
	v_cndmask_b32_e64 v90, v90, v31, s[72:73]                  // 000000005530: D100005A 01223F5A
	v_cndmask_b32_e64 v91, v91, v31, s[74:75]                  // 000000005538: D100005B 012A3F5B
	v_cmp_lt_i32_e64 s[72:73], v16, 24                         // 000000005540: D0C10048 00013110
	v_cmp_lt_i32_e64 s[74:75], v16, 25                         // 000000005548: D0C1004A 00013310
	v_cndmask_b32_e64 v92, v92, v31, s[72:73]                  // 000000005550: D100005C 01223F5C
	v_cndmask_b32_e64 v93, v93, v31, s[74:75]                  // 000000005558: D100005D 012A3F5D
	v_cmp_lt_i32_e64 s[72:73], v16, 26                         // 000000005560: D0C10048 00013510
	v_cmp_lt_i32_e64 s[74:75], v16, 27                         // 000000005568: D0C1004A 00013710
	v_cndmask_b32_e64 v94, v94, v31, s[72:73]                  // 000000005570: D100005E 01223F5E
	v_cndmask_b32_e64 v95, v95, v31, s[74:75]                  // 000000005578: D100005F 012A3F5F
	s_nop 0                                                    // 000000005580: BF800000
	s_cmp_lt_i32 s52, s54                                      // 000000005584: BF043634
	s_cbranch_scc1 label_08E6                                  // 000000005588: BF850043
	s_sub_i32 s40, s7, s52                                     // 00000000558C: 81A83407
	v_sub_i32 v16, s40, v30                                    // 000000005590: D29D0010 00023C28
	v_cmp_lt_i32_e64 s[72:73], 0, v16                          // 000000005598: D0C10048 00022080
	v_cmp_lt_i32_e64 s[74:75], 1, v16                          // 0000000055A0: D0C1004A 00022081
	v_cndmask_b32_e64 v80, v31, v80, s[72:73]                  // 0000000055A8: D1000050 0122A11F
	v_cndmask_b32_e64 v81, v31, v81, s[74:75]                  // 0000000055B0: D1000051 012AA31F
	v_cmp_lt_i32_e64 s[72:73], 2, v16                          // 0000000055B8: D0C10048 00022082
	v_cmp_lt_i32_e64 s[74:75], 3, v16                          // 0000000055C0: D0C1004A 00022083
	v_cndmask_b32_e64 v82, v31, v82, s[72:73]                  // 0000000055C8: D1000052 0122A51F
	v_cndmask_b32_e64 v83, v31, v83, s[74:75]                  // 0000000055D0: D1000053 012AA71F
	v_cmp_lt_i32_e64 s[72:73], 8, v16                          // 0000000055D8: D0C10048 00022088
	v_cmp_lt_i32_e64 s[74:75], 9, v16                          // 0000000055E0: D0C1004A 00022089
	v_cndmask_b32_e64 v84, v31, v84, s[72:73]                  // 0000000055E8: D1000054 0122A91F
	v_cndmask_b32_e64 v85, v31, v85, s[74:75]                  // 0000000055F0: D1000055 012AAB1F
	v_cmp_lt_i32_e64 s[72:73], 10, v16                         // 0000000055F8: D0C10048 0002208A
	v_cmp_lt_i32_e64 s[74:75], 11, v16                         // 000000005600: D0C1004A 0002208B
	v_cndmask_b32_e64 v86, v31, v86, s[72:73]                  // 000000005608: D1000056 0122AD1F
	v_cndmask_b32_e64 v87, v31, v87, s[74:75]                  // 000000005610: D1000057 012AAF1F
	v_cmp_lt_i32_e64 s[72:73], 16, v16                         // 000000005618: D0C10048 00022090
	v_cmp_lt_i32_e64 s[74:75], 17, v16                         // 000000005620: D0C1004A 00022091
	v_cndmask_b32_e64 v88, v31, v88, s[72:73]                  // 000000005628: D1000058 0122B11F
	v_cndmask_b32_e64 v89, v31, v89, s[74:75]                  // 000000005630: D1000059 012AB31F
	v_cmp_lt_i32_e64 s[72:73], 18, v16                         // 000000005638: D0C10048 00022092
	v_cmp_lt_i32_e64 s[74:75], 19, v16                         // 000000005640: D0C1004A 00022093
	v_cndmask_b32_e64 v90, v31, v90, s[72:73]                  // 000000005648: D100005A 0122B51F
	v_cndmask_b32_e64 v91, v31, v91, s[74:75]                  // 000000005650: D100005B 012AB71F
	v_cmp_lt_i32_e64 s[72:73], 24, v16                         // 000000005658: D0C10048 00022098
	v_cmp_lt_i32_e64 s[74:75], 25, v16                         // 000000005660: D0C1004A 00022099
	v_cndmask_b32_e64 v92, v31, v92, s[72:73]                  // 000000005668: D100005C 0122B91F
	v_cndmask_b32_e64 v93, v31, v93, s[74:75]                  // 000000005670: D100005D 012ABB1F
	v_cmp_lt_i32_e64 s[72:73], 26, v16                         // 000000005678: D0C10048 0002209A
	v_cmp_lt_i32_e64 s[74:75], 27, v16                         // 000000005680: D0C1004A 0002209B
	v_cndmask_b32_e64 v94, v31, v94, s[72:73]                  // 000000005688: D100005E 0122BD1F
	v_cndmask_b32_e64 v95, v31, v95, s[74:75]                  // 000000005690: D100005F 012ABF1F

0000000000005698 <label_08E6>:
	s_nop 0                                                    // 000000005698: BF800000
	s_mov_b32 m0, s69                                          // 00000000569C: BEFC0045
	buffer_load_dword v4, s[12:15], s60 offen lds              // 0000000056A0: E0511000 3C030004
	s_add_u32 m0, 0x880, m0                                    // 0000000056A8: 807C7CFF 00000880
	buffer_load_dword v5, s[12:15], s60 offen lds              // 0000000056B0: E0511000 3C030005
	s_add_u32 m0, 0x880, m0                                    // 0000000056B8: 807C7CFF 00000880
	buffer_load_dword v6, s[12:15], s60 offen lds              // 0000000056C0: E0511000 3C030006
	s_add_u32 m0, 0x880, m0                                    // 0000000056C8: 807C7CFF 00000880
	buffer_load_dword v7, s[12:15], s60 offen lds              // 0000000056D0: E0511000 3C030007
	s_add_u32 m0, 0x880, m0                                    // 0000000056D8: 807C7CFF 00000880
	s_add_i32 s60, s43, s60                                    // 0000000056E0: 813C3C2B
	s_nop 0                                                    // 0000000056E4: BF800000
	s_add_u32 s40, 0x80, s39                                   // 0000000056E8: 802827FF 00000080
	s_nop 0                                                    // 0000000056F0: BF800000
	s_cmp_lt_u32 s40, s38                                      // 0000000056F4: BF0A2628
	s_cselect_b32 s43, s43, 0                                  // 0000000056F8: 852B802B
	s_nop 7                                                    // 0000000056FC: BF800007
	ds_read_b64 v[192:193], v13 offset:17408                   // 000000005700: D8EC4400 C000000D
	ds_read_b64 v[194:195], v13 offset:18432                   // 000000005708: D8EC4800 C200000D
	ds_read_b64 v[196:197], v13 offset:19456                   // 000000005710: D8EC4C00 C400000D
	ds_read_b64 v[198:199], v13 offset:20480                   // 000000005718: D8EC5000 C600000D
	ds_read_b64 v[200:201], v13 offset:17536                   // 000000005720: D8EC4480 C800000D
	ds_read_b64 v[202:203], v13 offset:18560                   // 000000005728: D8EC4880 CA00000D
	ds_read_b64 v[204:205], v13 offset:19584                   // 000000005730: D8EC4C80 CC00000D
	ds_read_b64 v[206:207], v13 offset:20608                   // 000000005738: D8EC5080 CE00000D
	ds_read_b64 v[208:209], v13 offset:17664                   // 000000005740: D8EC4500 D000000D
	ds_read_b64 v[210:211], v13 offset:18688                   // 000000005748: D8EC4900 D200000D
	ds_read_b64 v[212:213], v13 offset:19712                   // 000000005750: D8EC4D00 D400000D
	ds_read_b64 v[214:215], v13 offset:20736                   // 000000005758: D8EC5100 D600000D
	ds_read_b64 v[216:217], v13 offset:17792                   // 000000005760: D8EC4580 D800000D
	ds_read_b64 v[218:219], v13 offset:18816                   // 000000005768: D8EC4980 DA00000D
	ds_read_b64 v[220:221], v13 offset:19840                   // 000000005770: D8EC4D80 DC00000D
	ds_read_b64 v[222:223], v13 offset:20864                   // 000000005778: D8EC5180 DE00000D
	s_nop 0                                                    // 000000005780: BF800000
	s_add_i32 s52, s52, s53                                    // 000000005784: 81343534
	s_addk_i32 s39, 0x20                                       // 000000005788: B7270020
	s_cmp_lt_i32 s39, s38                                      // 00000000578C: BF042627
	s_waitcnt vmcnt(8) lgkmcnt(0)                              // 000000005790: BF8C0078
	s_barrier                                                  // 000000005794: BF8A0000
	v_max3_f32 v25, v80, v81, v28                              // 000000005798: D1D30019 0472A350
	v_max3_f32 v25, v82, v83, v25                              // 0000000057A0: D1D30019 0466A752
	v_max3_f32 v25, v84, v85, v25                              // 0000000057A8: D1D30019 0466AB54
	v_max3_f32 v25, v86, v87, v25                              // 0000000057B0: D1D30019 0466AF56
	v_max3_f32 v25, v88, v89, v25                              // 0000000057B8: D1D30019 0466B358
	v_max3_f32 v25, v90, v91, v25                              // 0000000057C0: D1D30019 0466B75A
	v_max3_f32 v25, v92, v93, v25                              // 0000000057C8: D1D30019 0466BB5C
	v_max3_f32 v25, v94, v95, v25                              // 0000000057D0: D1D30019 0466BF5E
	v_mfma_f32_32x32x8_bf16 v[96:111], v[192:193], v[64:65], v[96:111]// 0000000057D8: D3E00060 058281C0
	ds_permute_b32 v24, v32, v25                               // 0000000057E0: D87C0000 18001920
	v_mfma_f32_32x32x8_bf16 v[96:111], v[194:195], v[66:67], v[96:111]// 0000000057E8: D3E00060 058285C2
	v_mfma_f32_32x32x8_bf16 v[96:111], v[196:197], v[68:69], v[96:111]// 0000000057F0: D3E00060 058289C4
	v_mfma_f32_32x32x8_bf16 v[96:111], v[198:199], v[70:71], v[96:111]// 0000000057F8: D3E00060 05828DC6
	v_mfma_f32_32x32x8_bf16 v[112:127], v[200:201], v[64:65], v[112:127]// 000000005800: D3E00070 05C281C8
	v_mfma_f32_32x32x8_bf16 v[112:127], v[202:203], v[66:67], v[112:127]// 000000005808: D3E00070 05C285CA
	v_mfma_f32_32x32x8_bf16 v[112:127], v[204:205], v[68:69], v[112:127]// 000000005810: D3E00070 05C289CC
	v_mfma_f32_32x32x8_bf16 v[112:127], v[206:207], v[70:71], v[112:127]// 000000005818: D3E00070 05C28DCE
	v_mfma_f32_32x32x8_bf16 v[128:143], v[208:209], v[64:65], v[128:143]// 000000005820: D3E00080 060281D0
	s_waitcnt lgkmcnt(0)                                       // 000000005828: BF8CC07F
	v_mfma_f32_32x32x8_bf16 v[128:143], v[210:211], v[66:67], v[128:143]// 00000000582C: D3E00080 060285D2
	v_mfma_f32_32x32x8_bf16 v[128:143], v[212:213], v[68:69], v[128:143]// 000000005834: D3E00080 060289D4
	v_mfma_f32_32x32x8_bf16 v[128:143], v[214:215], v[70:71], v[128:143]// 00000000583C: D3E00080 06028DD6
	v_mfma_f32_32x32x8_bf16 v[144:159], v[216:217], v[64:65], v[144:159]// 000000005844: D3E00090 064281D8
	v_mfma_f32_32x32x8_bf16 v[144:159], v[218:219], v[66:67], v[144:159]// 00000000584C: D3E00090 064285DA
	v_mfma_f32_32x32x8_bf16 v[144:159], v[220:221], v[68:69], v[144:159]// 000000005854: D3E00090 064289DC
	v_mfma_f32_32x32x8_bf16 v[144:159], v[222:223], v[70:71], v[144:159]// 00000000585C: D3E00090 06428DDE
	v_max_f32_e32 v25, v24, v25                                // 000000005864: 16323318
	v_sub_f32_e32 v20, v28, v25                                // 000000005868: 0428331C
	v_mov_b32_e32 v28, v25                                     // 00000000586C: 7E380319
	v_mul_f32_e32 v27, s56, v25                                // 000000005870: 0A363238
	v_mul_f32_e32 v20, s56, v20                                // 000000005874: 0A282838
	v_exp_f32_e32 v20, v20                                     // 000000005878: 7E284114
	v_add_f32_e64 v36, 0, -v27                                 // 00000000587C: D1010024 40023680
	v_mov_b32_e32 v37, v36                                     // 000000005884: 7E4A0324
	v_pk_fma_f32 v[80:81], v[80:81], s[56:57], v[36:37]        // 000000005888: D3B04050 1C907150
	v_pk_fma_f32 v[82:83], v[82:83], s[56:57], v[36:37]        // 000000005890: D3B04052 1C907152
	v_pk_fma_f32 v[84:85], v[84:85], s[56:57], v[36:37]        // 000000005898: D3B04054 1C907154
	v_pk_fma_f32 v[86:87], v[86:87], s[56:57], v[36:37]        // 0000000058A0: D3B04056 1C907156
	v_pk_fma_f32 v[88:89], v[88:89], s[56:57], v[36:37]        // 0000000058A8: D3B04058 1C907158
	v_pk_fma_f32 v[90:91], v[90:91], s[56:57], v[36:37]        // 0000000058B0: D3B0405A 1C90715A
	v_pk_fma_f32 v[92:93], v[92:93], s[56:57], v[36:37]        // 0000000058B8: D3B0405C 1C90715C
	v_pk_fma_f32 v[94:95], v[94:95], s[56:57], v[36:37]        // 0000000058C0: D3B0405E 1C90715E
	v_nop                                                      // 0000000058C8: 7E000000
	v_mov_b32_e32 v21, v20                                     // 0000000058CC: 7E2A0314
	v_mul_f32_e32 v96, v20, v96                                // 0000000058D0: 0AC0C114
	v_mul_f32_e32 v97, v20, v97                                // 0000000058D4: 0AC2C314
	v_pk_mul_f32 v[98:99], v[20:21], v[98:99]                  // 0000000058D8: D3B14062 1802C514
	v_pk_mul_f32 v[100:101], v[20:21], v[100:101]              // 0000000058E0: D3B14064 1802C914
	v_pk_mul_f32 v[102:103], v[20:21], v[102:103]              // 0000000058E8: D3B14066 1802CD14
	v_pk_mul_f32 v[104:105], v[20:21], v[104:105]              // 0000000058F0: D3B14068 1802D114
	v_pk_mul_f32 v[106:107], v[20:21], v[106:107]              // 0000000058F8: D3B1406A 1802D514
	v_pk_mul_f32 v[108:109], v[20:21], v[108:109]              // 000000005900: D3B1406C 1802D914
	v_pk_mul_f32 v[110:111], v[20:21], v[110:111]              // 000000005908: D3B1406E 1802DD14
	v_pk_mul_f32 v[112:113], v[20:21], v[112:113]              // 000000005910: D3B14070 1802E114
	v_pk_mul_f32 v[114:115], v[20:21], v[114:115]              // 000000005918: D3B14072 1802E514
	v_pk_mul_f32 v[116:117], v[20:21], v[116:117]              // 000000005920: D3B14074 1802E914
	v_pk_mul_f32 v[118:119], v[20:21], v[118:119]              // 000000005928: D3B14076 1802ED14
	v_pk_mul_f32 v[120:121], v[20:21], v[120:121]              // 000000005930: D3B14078 1802F114
	v_pk_mul_f32 v[122:123], v[20:21], v[122:123]              // 000000005938: D3B1407A 1802F514
	v_pk_mul_f32 v[124:125], v[20:21], v[124:125]              // 000000005940: D3B1407C 1802F914
	v_pk_mul_f32 v[126:127], v[20:21], v[126:127]              // 000000005948: D3B1407E 1802FD14
	v_pk_mul_f32 v[128:129], v[20:21], v[128:129]              // 000000005950: D3B14080 18030114
	v_pk_mul_f32 v[130:131], v[20:21], v[130:131]              // 000000005958: D3B14082 18030514
	v_pk_mul_f32 v[132:133], v[20:21], v[132:133]              // 000000005960: D3B14084 18030914
	v_pk_mul_f32 v[134:135], v[20:21], v[134:135]              // 000000005968: D3B14086 18030D14
	v_pk_mul_f32 v[136:137], v[20:21], v[136:137]              // 000000005970: D3B14088 18031114
	v_pk_mul_f32 v[138:139], v[20:21], v[138:139]              // 000000005978: D3B1408A 18031514
	v_pk_mul_f32 v[140:141], v[20:21], v[140:141]              // 000000005980: D3B1408C 18031914
	v_pk_mul_f32 v[142:143], v[20:21], v[142:143]              // 000000005988: D3B1408E 18031D14
	v_pk_mul_f32 v[144:145], v[20:21], v[144:145]              // 000000005990: D3B14090 18032114
	v_pk_mul_f32 v[146:147], v[20:21], v[146:147]              // 000000005998: D3B14092 18032514
	v_pk_mul_f32 v[148:149], v[20:21], v[148:149]              // 0000000059A0: D3B14094 18032914
	v_pk_mul_f32 v[150:151], v[20:21], v[150:151]              // 0000000059A8: D3B14096 18032D14
	v_pk_mul_f32 v[152:153], v[20:21], v[152:153]              // 0000000059B0: D3B14098 18033114
	v_pk_mul_f32 v[154:155], v[20:21], v[154:155]              // 0000000059B8: D3B1409A 18033514
	v_pk_mul_f32 v[156:157], v[20:21], v[156:157]              // 0000000059C0: D3B1409C 18033914
	v_pk_mul_f32 v[158:159], v[20:21], v[158:159]              // 0000000059C8: D3B1409E 18033D14
	s_cbranch_scc0 label_0B96                                  // 0000000059D0: BF8401E1
	s_nop 0                                                    // 0000000059D4: BF800000
	buffer_load_dword v224, v8, s[16:19], s35 offen            // 0000000059D8: E0501000 2304E008
	buffer_load_dword v225, v9, s[16:19], s35 offen            // 0000000059E0: E0501000 2304E109
	buffer_load_dword v226, v10, s[16:19], s35 offen           // 0000000059E8: E0501000 2304E20A
	buffer_load_dword v227, v11, s[16:19], s35 offen           // 0000000059F0: E0501000 2304E30B
	s_add_i32 s35, s44, s35                                    // 0000000059F8: 8123232C
	s_nop 0                                                    // 0000000059FC: BF800000
	s_add_u32 s40, 64, s39                                     // 000000005A00: 802827C0
	s_nop 0                                                    // 000000005A04: BF800000
	s_cmp_lt_u32 s40, s38                                      // 000000005A08: BF0A2628
	s_cselect_b32 s44, s44, 0                                  // 000000005A0C: 852C802C
	ds_read_b128 v[192:195], v12                               // 000000005A10: D9FE0000 C000000C
	ds_read_b128 v[196:199], v12 offset:32                     // 000000005A18: D9FE0020 C400000C
	ds_read_b128 v[200:203], v12 offset:64                     // 000000005A20: D9FE0040 C800000C
	ds_read_b128 v[204:207], v12 offset:96                     // 000000005A28: D9FE0060 CC00000C
	ds_read_b128 v[208:211], v12 offset:128                    // 000000005A30: D9FE0080 D000000C
	ds_read_b128 v[212:215], v12 offset:160                    // 000000005A38: D9FE00A0 D400000C
	ds_read_b128 v[216:219], v12 offset:192                    // 000000005A40: D9FE00C0 D800000C
	ds_read_b128 v[220:223], v12 offset:224                    // 000000005A48: D9FE00E0 DC00000C
	s_waitcnt vmcnt(8) lgkmcnt(0)                              // 000000005A50: BF8C0078
	s_barrier                                                  // 000000005A54: BF8A0000
	v_perm_b32 v232, v229, v228, s50                           // 000000005A58: D1ED00E8 00CBC9E5
	v_perm_b32 v234, v229, v228, s49                           // 000000005A60: D1ED00EA 00C7C9E5
	v_perm_b32 v233, v231, v230, s50                           // 000000005A68: D1ED00E9 00CBCDE7
	v_perm_b32 v235, v231, v230, s49                           // 000000005A70: D1ED00EB 00C7CDE7
	s_nop 3                                                    // 000000005A78: BF800003
	v_mfma_f32_32x32x8_bf16 v[64:79], v[192:193], v[160:161], 0// 000000005A7C: D3E00040 020341C0
	ds_write_b64 v14, v[232:233] offset:17408                  // 000000005A84: D89A4400 0000E80E
	v_mfma_f32_32x32x8_bf16 v[64:79], v[194:195], v[162:163], v[64:79]// 000000005A8C: D3E00040 050345C2
	ds_write_b64 v14, v[234:235] offset:21568                  // 000000005A94: D89A5440 0000EA0E
	v_mfma_f32_32x32x8_bf16 v[64:79], v[196:197], v[164:165], v[64:79]// 000000005A9C: D3E00040 050349C4
	v_mfma_f32_32x32x8_bf16 v[64:79], v[198:199], v[166:167], v[64:79]// 000000005AA4: D3E00040 05034DC6
	v_mfma_f32_32x32x8_bf16 v[64:79], v[200:201], v[168:169], v[64:79]// 000000005AAC: D3E00040 050351C8
	v_mfma_f32_32x32x8_bf16 v[64:79], v[202:203], v[170:171], v[64:79]// 000000005AB4: D3E00040 050355CA
	v_mfma_f32_32x32x8_bf16 v[64:79], v[204:205], v[172:173], v[64:79]// 000000005ABC: D3E00040 050359CC
	s_waitcnt lgkmcnt(0)                                       // 000000005AC4: BF8CC07F
	s_barrier                                                  // 000000005AC8: BF8A0000
	v_mfma_f32_32x32x8_bf16 v[64:79], v[206:207], v[174:175], v[64:79]// 000000005ACC: D3E00040 05035DCE
	v_mfma_f32_32x32x8_bf16 v[64:79], v[208:209], v[176:177], v[64:79]// 000000005AD4: D3E00040 050361D0
	v_mfma_f32_32x32x8_bf16 v[64:79], v[210:211], v[178:179], v[64:79]// 000000005ADC: D3E00040 050365D2
	v_mfma_f32_32x32x8_bf16 v[64:79], v[212:213], v[180:181], v[64:79]// 000000005AE4: D3E00040 050369D4
	v_mfma_f32_32x32x8_bf16 v[64:79], v[214:215], v[182:183], v[64:79]// 000000005AEC: D3E00040 05036DD6
	v_mfma_f32_32x32x8_bf16 v[64:79], v[216:217], v[184:185], v[64:79]// 000000005AF4: D3E00040 050371D8
	v_mfma_f32_32x32x8_bf16 v[64:79], v[218:219], v[186:187], v[64:79]// 000000005AFC: D3E00040 050375DA
	v_mfma_f32_32x32x8_bf16 v[64:79], v[220:221], v[188:189], v[64:79]// 000000005B04: D3E00040 050379DC
	v_exp_f32_e32 v80, v80                                     // 000000005B0C: 7EA04150
	v_exp_f32_e32 v81, v81                                     // 000000005B10: 7EA24151
	v_exp_f32_e32 v82, v82                                     // 000000005B14: 7EA44152
	v_exp_f32_e32 v83, v83                                     // 000000005B18: 7EA64153
	v_exp_f32_e32 v84, v84                                     // 000000005B1C: 7EA84154
	v_exp_f32_e32 v85, v85                                     // 000000005B20: 7EAA4155
	v_exp_f32_e32 v86, v86                                     // 000000005B24: 7EAC4156
	v_exp_f32_e32 v87, v87                                     // 000000005B28: 7EAE4157
	v_exp_f32_e32 v88, v88                                     // 000000005B2C: 7EB04158
	v_exp_f32_e32 v89, v89                                     // 000000005B30: 7EB24159
	v_exp_f32_e32 v90, v90                                     // 000000005B34: 7EB4415A
	v_exp_f32_e32 v91, v91                                     // 000000005B38: 7EB6415B
	v_exp_f32_e32 v92, v92                                     // 000000005B3C: 7EB8415C
	v_exp_f32_e32 v93, v93                                     // 000000005B40: 7EBA415D
	v_exp_f32_e32 v94, v94                                     // 000000005B44: 7EBC415E
	v_exp_f32_e32 v95, v95                                     // 000000005B48: 7EBE415F
	v_mul_f32_e32 v22, v20, v22                                // 000000005B4C: 0A2C2D14
	v_pk_add_f32 v[38:39], v[80:81], v[82:83]                  // 000000005B50: D3B24026 1802A550
	v_pk_add_f32 v[38:39], v[84:85], v[38:39]                  // 000000005B58: D3B24026 18024D54
	v_pk_add_f32 v[38:39], v[86:87], v[38:39]                  // 000000005B60: D3B24026 18024D56
	v_pk_add_f32 v[38:39], v[88:89], v[38:39]                  // 000000005B68: D3B24026 18024D58
	v_pk_add_f32 v[38:39], v[90:91], v[38:39]                  // 000000005B70: D3B24026 18024D5A
	v_pk_add_f32 v[38:39], v[92:93], v[38:39]                  // 000000005B78: D3B24026 18024D5C
	v_pk_add_f32 v[38:39], v[94:95], v[38:39]                  // 000000005B80: D3B24026 18024D5E
	v_add_f32_e32 v38, v38, v39                                // 000000005B88: 024C4F26
	v_add_f32_e32 v22, v38, v22                                // 000000005B8C: 022C2D26
	v_perm_b32 v80, v81, v80, s49                              // 000000005B90: D1ED0050 00C6A151
	v_perm_b32 v81, v83, v82, s49                              // 000000005B98: D1ED0051 00C6A553
	v_perm_b32 v82, v85, v84, s49                              // 000000005BA0: D1ED0052 00C6A955
	v_perm_b32 v83, v87, v86, s49                              // 000000005BA8: D1ED0053 00C6AD57
	v_perm_b32 v84, v89, v88, s49                              // 000000005BB0: D1ED0054 00C6B159
	v_perm_b32 v85, v91, v90, s49                              // 000000005BB8: D1ED0055 00C6B55B
	v_perm_b32 v86, v93, v92, s49                              // 000000005BC0: D1ED0056 00C6B95D
	v_perm_b32 v87, v95, v94, s49                              // 000000005BC8: D1ED0057 00C6BD5F
	v_mfma_f32_32x32x8_bf16 v[64:79], v[222:223], v[190:191], v[64:79]// 000000005BD0: D3E00040 05037DDE
	s_barrier                                                  // 000000005BD8: BF8A0000
	s_cmp_lt_i32 s52, s51                                      // 000000005BDC: BF043334
	s_cbranch_scc1 label_0AC6                                  // 000000005BE0: BF85008D
	s_sub_i32 s40, s51, s52                                    // 000000005BE4: 81A83433
	s_sub_i32 s41, s7, s30                                     // 000000005BE8: 81A91E07
	s_and_b32 s41, s41, 31                                     // 000000005BEC: 86299F29
	s_add_i32 s40, s40, s41                                    // 000000005BF0: 81282928
	v_add_i32 v16, v29, s40                                    // 000000005BF4: D29C0010 0000511D
	s_nop 0                                                    // 000000005BFC: BF800000
	v_cmp_lt_i32_e64 s[72:73], v16, 0                          // 000000005C00: D0C10048 00010110
	v_cmp_lt_i32_e64 s[74:75], v16, 1                          // 000000005C08: D0C1004A 00010310
	v_cndmask_b32_e64 v64, v64, v31, s[72:73]                  // 000000005C10: D1000040 01223F40
	v_cndmask_b32_e64 v65, v65, v31, s[74:75]                  // 000000005C18: D1000041 012A3F41
	v_cmp_lt_i32_e64 s[72:73], v16, 2                          // 000000005C20: D0C10048 00010510
	v_cmp_lt_i32_e64 s[74:75], v16, 3                          // 000000005C28: D0C1004A 00010710
	v_cndmask_b32_e64 v66, v66, v31, s[72:73]                  // 000000005C30: D1000042 01223F42
	v_cndmask_b32_e64 v67, v67, v31, s[74:75]                  // 000000005C38: D1000043 012A3F43
	v_cmp_lt_i32_e64 s[72:73], v16, 8                          // 000000005C40: D0C10048 00011110
	v_cmp_lt_i32_e64 s[74:75], v16, 9                          // 000000005C48: D0C1004A 00011310
	v_cndmask_b32_e64 v68, v68, v31, s[72:73]                  // 000000005C50: D1000044 01223F44
	v_cndmask_b32_e64 v69, v69, v31, s[74:75]                  // 000000005C58: D1000045 012A3F45
	v_cmp_lt_i32_e64 s[72:73], v16, 10                         // 000000005C60: D0C10048 00011510
	v_cmp_lt_i32_e64 s[74:75], v16, 11                         // 000000005C68: D0C1004A 00011710
	v_cndmask_b32_e64 v70, v70, v31, s[72:73]                  // 000000005C70: D1000046 01223F46
	v_cndmask_b32_e64 v71, v71, v31, s[74:75]                  // 000000005C78: D1000047 012A3F47
	v_cmp_lt_i32_e64 s[72:73], v16, 16                         // 000000005C80: D0C10048 00012110
	v_cmp_lt_i32_e64 s[74:75], v16, 17                         // 000000005C88: D0C1004A 00012310
	v_cndmask_b32_e64 v72, v72, v31, s[72:73]                  // 000000005C90: D1000048 01223F48
	v_cndmask_b32_e64 v73, v73, v31, s[74:75]                  // 000000005C98: D1000049 012A3F49
	v_cmp_lt_i32_e64 s[72:73], v16, 18                         // 000000005CA0: D0C10048 00012510
	v_cmp_lt_i32_e64 s[74:75], v16, 19                         // 000000005CA8: D0C1004A 00012710
	v_cndmask_b32_e64 v74, v74, v31, s[72:73]                  // 000000005CB0: D100004A 01223F4A
	v_cndmask_b32_e64 v75, v75, v31, s[74:75]                  // 000000005CB8: D100004B 012A3F4B
	v_cmp_lt_i32_e64 s[72:73], v16, 24                         // 000000005CC0: D0C10048 00013110
	v_cmp_lt_i32_e64 s[74:75], v16, 25                         // 000000005CC8: D0C1004A 00013310
	v_cndmask_b32_e64 v76, v76, v31, s[72:73]                  // 000000005CD0: D100004C 01223F4C
	v_cndmask_b32_e64 v77, v77, v31, s[74:75]                  // 000000005CD8: D100004D 012A3F4D
	v_cmp_lt_i32_e64 s[72:73], v16, 26                         // 000000005CE0: D0C10048 00013510
	v_cmp_lt_i32_e64 s[74:75], v16, 27                         // 000000005CE8: D0C1004A 00013710
	v_cndmask_b32_e64 v78, v78, v31, s[72:73]                  // 000000005CF0: D100004E 01223F4E
	v_cndmask_b32_e64 v79, v79, v31, s[74:75]                  // 000000005CF8: D100004F 012A3F4F
	s_nop 0                                                    // 000000005D00: BF800000
	s_cmp_lt_i32 s52, s54                                      // 000000005D04: BF043634
	s_cbranch_scc1 label_0AC6                                  // 000000005D08: BF850043
	s_sub_i32 s40, s7, s52                                     // 000000005D0C: 81A83407
	v_sub_i32 v16, s40, v30                                    // 000000005D10: D29D0010 00023C28
	v_cmp_lt_i32_e64 s[72:73], 0, v16                          // 000000005D18: D0C10048 00022080
	v_cmp_lt_i32_e64 s[74:75], 1, v16                          // 000000005D20: D0C1004A 00022081
	v_cndmask_b32_e64 v64, v31, v64, s[72:73]                  // 000000005D28: D1000040 0122811F
	v_cndmask_b32_e64 v65, v31, v65, s[74:75]                  // 000000005D30: D1000041 012A831F
	v_cmp_lt_i32_e64 s[72:73], 2, v16                          // 000000005D38: D0C10048 00022082
	v_cmp_lt_i32_e64 s[74:75], 3, v16                          // 000000005D40: D0C1004A 00022083
	v_cndmask_b32_e64 v66, v31, v66, s[72:73]                  // 000000005D48: D1000042 0122851F
	v_cndmask_b32_e64 v67, v31, v67, s[74:75]                  // 000000005D50: D1000043 012A871F
	v_cmp_lt_i32_e64 s[72:73], 8, v16                          // 000000005D58: D0C10048 00022088
	v_cmp_lt_i32_e64 s[74:75], 9, v16                          // 000000005D60: D0C1004A 00022089
	v_cndmask_b32_e64 v68, v31, v68, s[72:73]                  // 000000005D68: D1000044 0122891F
	v_cndmask_b32_e64 v69, v31, v69, s[74:75]                  // 000000005D70: D1000045 012A8B1F
	v_cmp_lt_i32_e64 s[72:73], 10, v16                         // 000000005D78: D0C10048 0002208A
	v_cmp_lt_i32_e64 s[74:75], 11, v16                         // 000000005D80: D0C1004A 0002208B
	v_cndmask_b32_e64 v70, v31, v70, s[72:73]                  // 000000005D88: D1000046 01228D1F
	v_cndmask_b32_e64 v71, v31, v71, s[74:75]                  // 000000005D90: D1000047 012A8F1F
	v_cmp_lt_i32_e64 s[72:73], 16, v16                         // 000000005D98: D0C10048 00022090
	v_cmp_lt_i32_e64 s[74:75], 17, v16                         // 000000005DA0: D0C1004A 00022091
	v_cndmask_b32_e64 v72, v31, v72, s[72:73]                  // 000000005DA8: D1000048 0122911F
	v_cndmask_b32_e64 v73, v31, v73, s[74:75]                  // 000000005DB0: D1000049 012A931F
	v_cmp_lt_i32_e64 s[72:73], 18, v16                         // 000000005DB8: D0C10048 00022092
	v_cmp_lt_i32_e64 s[74:75], 19, v16                         // 000000005DC0: D0C1004A 00022093
	v_cndmask_b32_e64 v74, v31, v74, s[72:73]                  // 000000005DC8: D100004A 0122951F
	v_cndmask_b32_e64 v75, v31, v75, s[74:75]                  // 000000005DD0: D100004B 012A971F
	v_cmp_lt_i32_e64 s[72:73], 24, v16                         // 000000005DD8: D0C10048 00022098
	v_cmp_lt_i32_e64 s[74:75], 25, v16                         // 000000005DE0: D0C1004A 00022099
	v_cndmask_b32_e64 v76, v31, v76, s[72:73]                  // 000000005DE8: D100004C 0122991F
	v_cndmask_b32_e64 v77, v31, v77, s[74:75]                  // 000000005DF0: D100004D 012A9B1F
	v_cmp_lt_i32_e64 s[72:73], 26, v16                         // 000000005DF8: D0C10048 0002209A
	v_cmp_lt_i32_e64 s[74:75], 27, v16                         // 000000005E00: D0C1004A 0002209B
	v_cndmask_b32_e64 v78, v31, v78, s[72:73]                  // 000000005E08: D100004E 01229D1F
	v_cndmask_b32_e64 v79, v31, v79, s[74:75]                  // 000000005E10: D100004F 012A9F1F

0000000000005e18 <label_0AC6>:
	s_nop 0                                                    // 000000005E18: BF800000
	s_mov_b32 m0, s68                                          // 000000005E1C: BEFC0044
	buffer_load_dword v4, s[12:15], s60 offen lds              // 000000005E20: E0511000 3C030004
	s_add_u32 m0, 0x880, m0                                    // 000000005E28: 807C7CFF 00000880
	buffer_load_dword v5, s[12:15], s60 offen lds              // 000000005E30: E0511000 3C030005
	s_add_u32 m0, 0x880, m0                                    // 000000005E38: 807C7CFF 00000880
	buffer_load_dword v6, s[12:15], s60 offen lds              // 000000005E40: E0511000 3C030006
	s_add_u32 m0, 0x880, m0                                    // 000000005E48: 807C7CFF 00000880
	buffer_load_dword v7, s[12:15], s60 offen lds              // 000000005E50: E0511000 3C030007
	s_add_u32 m0, 0x880, m0                                    // 000000005E58: 807C7CFF 00000880
	s_add_i32 s60, s43, s60                                    // 000000005E60: 813C3C2B
	s_nop 0                                                    // 000000005E64: BF800000
	s_add_u32 s40, 0x80, s39                                   // 000000005E68: 802827FF 00000080
	s_nop 0                                                    // 000000005E70: BF800000
	s_cmp_lt_u32 s40, s38                                      // 000000005E74: BF0A2628
	s_cselect_b32 s43, s43, 0                                  // 000000005E78: 852B802B
	s_nop 7                                                    // 000000005E7C: BF800007
	ds_read_b64 v[192:193], v13 offset:17408                   // 000000005E80: D8EC4400 C000000D
	ds_read_b64 v[194:195], v13 offset:18432                   // 000000005E88: D8EC4800 C200000D
	ds_read_b64 v[196:197], v13 offset:19456                   // 000000005E90: D8EC4C00 C400000D
	ds_read_b64 v[198:199], v13 offset:20480                   // 000000005E98: D8EC5000 C600000D
	ds_read_b64 v[200:201], v13 offset:17536                   // 000000005EA0: D8EC4480 C800000D
	ds_read_b64 v[202:203], v13 offset:18560                   // 000000005EA8: D8EC4880 CA00000D
	ds_read_b64 v[204:205], v13 offset:19584                   // 000000005EB0: D8EC4C80 CC00000D
	ds_read_b64 v[206:207], v13 offset:20608                   // 000000005EB8: D8EC5080 CE00000D
	ds_read_b64 v[208:209], v13 offset:17664                   // 000000005EC0: D8EC4500 D000000D
	ds_read_b64 v[210:211], v13 offset:18688                   // 000000005EC8: D8EC4900 D200000D
	ds_read_b64 v[212:213], v13 offset:19712                   // 000000005ED0: D8EC4D00 D400000D
	ds_read_b64 v[214:215], v13 offset:20736                   // 000000005ED8: D8EC5100 D600000D
	ds_read_b64 v[216:217], v13 offset:17792                   // 000000005EE0: D8EC4580 D800000D
	ds_read_b64 v[218:219], v13 offset:18816                   // 000000005EE8: D8EC4980 DA00000D
	ds_read_b64 v[220:221], v13 offset:19840                   // 000000005EF0: D8EC4D80 DC00000D
	ds_read_b64 v[222:223], v13 offset:20864                   // 000000005EF8: D8EC5180 DE00000D
	s_nop 0                                                    // 000000005F00: BF800000
	s_add_i32 s52, s52, s53                                    // 000000005F04: 81343534
	s_addk_i32 s39, 0x20                                       // 000000005F08: B7270020
	s_cmp_lt_i32 s39, s38                                      // 000000005F0C: BF042627
	s_waitcnt vmcnt(8) lgkmcnt(0)                              // 000000005F10: BF8C0078
	s_barrier                                                  // 000000005F14: BF8A0000
	v_max3_f32 v25, v64, v65, v28                              // 000000005F18: D1D30019 04728340
	v_max3_f32 v25, v66, v67, v25                              // 000000005F20: D1D30019 04668742
	v_max3_f32 v25, v68, v69, v25                              // 000000005F28: D1D30019 04668B44
	v_max3_f32 v25, v70, v71, v25                              // 000000005F30: D1D30019 04668F46
	v_max3_f32 v25, v72, v73, v25                              // 000000005F38: D1D30019 04669348
	v_max3_f32 v25, v74, v75, v25                              // 000000005F40: D1D30019 0466974A
	v_max3_f32 v25, v76, v77, v25                              // 000000005F48: D1D30019 04669B4C
	v_max3_f32 v25, v78, v79, v25                              // 000000005F50: D1D30019 04669F4E
	v_mfma_f32_32x32x8_bf16 v[96:111], v[192:193], v[80:81], v[96:111]// 000000005F58: D3E00060 0582A1C0
	ds_permute_b32 v24, v32, v25                               // 000000005F60: D87C0000 18001920
	v_mfma_f32_32x32x8_bf16 v[96:111], v[194:195], v[82:83], v[96:111]// 000000005F68: D3E00060 0582A5C2
	v_mfma_f32_32x32x8_bf16 v[96:111], v[196:197], v[84:85], v[96:111]// 000000005F70: D3E00060 0582A9C4
	v_mfma_f32_32x32x8_bf16 v[96:111], v[198:199], v[86:87], v[96:111]// 000000005F78: D3E00060 0582ADC6
	v_mfma_f32_32x32x8_bf16 v[112:127], v[200:201], v[80:81], v[112:127]// 000000005F80: D3E00070 05C2A1C8
	v_mfma_f32_32x32x8_bf16 v[112:127], v[202:203], v[82:83], v[112:127]// 000000005F88: D3E00070 05C2A5CA
	v_mfma_f32_32x32x8_bf16 v[112:127], v[204:205], v[84:85], v[112:127]// 000000005F90: D3E00070 05C2A9CC
	v_mfma_f32_32x32x8_bf16 v[112:127], v[206:207], v[86:87], v[112:127]// 000000005F98: D3E00070 05C2ADCE
	v_mfma_f32_32x32x8_bf16 v[128:143], v[208:209], v[80:81], v[128:143]// 000000005FA0: D3E00080 0602A1D0
	s_waitcnt lgkmcnt(0)                                       // 000000005FA8: BF8CC07F
	v_mfma_f32_32x32x8_bf16 v[128:143], v[210:211], v[82:83], v[128:143]// 000000005FAC: D3E00080 0602A5D2
	v_mfma_f32_32x32x8_bf16 v[128:143], v[212:213], v[84:85], v[128:143]// 000000005FB4: D3E00080 0602A9D4
	v_mfma_f32_32x32x8_bf16 v[128:143], v[214:215], v[86:87], v[128:143]// 000000005FBC: D3E00080 0602ADD6
	v_mfma_f32_32x32x8_bf16 v[144:159], v[216:217], v[80:81], v[144:159]// 000000005FC4: D3E00090 0642A1D8
	v_mfma_f32_32x32x8_bf16 v[144:159], v[218:219], v[82:83], v[144:159]// 000000005FCC: D3E00090 0642A5DA
	v_mfma_f32_32x32x8_bf16 v[144:159], v[220:221], v[84:85], v[144:159]// 000000005FD4: D3E00090 0642A9DC
	v_mfma_f32_32x32x8_bf16 v[144:159], v[222:223], v[86:87], v[144:159]// 000000005FDC: D3E00090 0642ADDE
	v_max_f32_e32 v25, v24, v25                                // 000000005FE4: 16323318
	v_sub_f32_e32 v20, v28, v25                                // 000000005FE8: 0428331C
	v_mov_b32_e32 v28, v25                                     // 000000005FEC: 7E380319
	v_mul_f32_e32 v27, s56, v25                                // 000000005FF0: 0A363238
	v_mul_f32_e32 v20, s56, v20                                // 000000005FF4: 0A282838
	v_exp_f32_e32 v20, v20                                     // 000000005FF8: 7E284114
	v_add_f32_e64 v36, 0, -v27                                 // 000000005FFC: D1010024 40023680
	v_mov_b32_e32 v37, v36                                     // 000000006004: 7E4A0324
	v_pk_fma_f32 v[64:65], v[64:65], s[56:57], v[36:37]        // 000000006008: D3B04040 1C907140
	v_pk_fma_f32 v[66:67], v[66:67], s[56:57], v[36:37]        // 000000006010: D3B04042 1C907142
	v_pk_fma_f32 v[68:69], v[68:69], s[56:57], v[36:37]        // 000000006018: D3B04044 1C907144
	v_pk_fma_f32 v[70:71], v[70:71], s[56:57], v[36:37]        // 000000006020: D3B04046 1C907146
	v_pk_fma_f32 v[72:73], v[72:73], s[56:57], v[36:37]        // 000000006028: D3B04048 1C907148
	v_pk_fma_f32 v[74:75], v[74:75], s[56:57], v[36:37]        // 000000006030: D3B0404A 1C90714A
	v_pk_fma_f32 v[76:77], v[76:77], s[56:57], v[36:37]        // 000000006038: D3B0404C 1C90714C
	v_pk_fma_f32 v[78:79], v[78:79], s[56:57], v[36:37]        // 000000006040: D3B0404E 1C90714E
	v_nop                                                      // 000000006048: 7E000000
	v_mov_b32_e32 v21, v20                                     // 00000000604C: 7E2A0314
	v_mul_f32_e32 v96, v20, v96                                // 000000006050: 0AC0C114
	v_mul_f32_e32 v97, v20, v97                                // 000000006054: 0AC2C314
	v_pk_mul_f32 v[98:99], v[20:21], v[98:99]                  // 000000006058: D3B14062 1802C514
	v_pk_mul_f32 v[100:101], v[20:21], v[100:101]              // 000000006060: D3B14064 1802C914
	v_pk_mul_f32 v[102:103], v[20:21], v[102:103]              // 000000006068: D3B14066 1802CD14
	v_pk_mul_f32 v[104:105], v[20:21], v[104:105]              // 000000006070: D3B14068 1802D114
	v_pk_mul_f32 v[106:107], v[20:21], v[106:107]              // 000000006078: D3B1406A 1802D514
	v_pk_mul_f32 v[108:109], v[20:21], v[108:109]              // 000000006080: D3B1406C 1802D914
	v_pk_mul_f32 v[110:111], v[20:21], v[110:111]              // 000000006088: D3B1406E 1802DD14
	v_pk_mul_f32 v[112:113], v[20:21], v[112:113]              // 000000006090: D3B14070 1802E114
	v_pk_mul_f32 v[114:115], v[20:21], v[114:115]              // 000000006098: D3B14072 1802E514
	v_pk_mul_f32 v[116:117], v[20:21], v[116:117]              // 0000000060A0: D3B14074 1802E914
	v_pk_mul_f32 v[118:119], v[20:21], v[118:119]              // 0000000060A8: D3B14076 1802ED14
	v_pk_mul_f32 v[120:121], v[20:21], v[120:121]              // 0000000060B0: D3B14078 1802F114
	v_pk_mul_f32 v[122:123], v[20:21], v[122:123]              // 0000000060B8: D3B1407A 1802F514
	v_pk_mul_f32 v[124:125], v[20:21], v[124:125]              // 0000000060C0: D3B1407C 1802F914
	v_pk_mul_f32 v[126:127], v[20:21], v[126:127]              // 0000000060C8: D3B1407E 1802FD14
	v_pk_mul_f32 v[128:129], v[20:21], v[128:129]              // 0000000060D0: D3B14080 18030114
	v_pk_mul_f32 v[130:131], v[20:21], v[130:131]              // 0000000060D8: D3B14082 18030514
	v_pk_mul_f32 v[132:133], v[20:21], v[132:133]              // 0000000060E0: D3B14084 18030914
	v_pk_mul_f32 v[134:135], v[20:21], v[134:135]              // 0000000060E8: D3B14086 18030D14
	v_pk_mul_f32 v[136:137], v[20:21], v[136:137]              // 0000000060F0: D3B14088 18031114
	v_pk_mul_f32 v[138:139], v[20:21], v[138:139]              // 0000000060F8: D3B1408A 18031514
	v_pk_mul_f32 v[140:141], v[20:21], v[140:141]              // 000000006100: D3B1408C 18031914
	v_pk_mul_f32 v[142:143], v[20:21], v[142:143]              // 000000006108: D3B1408E 18031D14
	v_pk_mul_f32 v[144:145], v[20:21], v[144:145]              // 000000006110: D3B14090 18032114
	v_pk_mul_f32 v[146:147], v[20:21], v[146:147]              // 000000006118: D3B14092 18032514
	v_pk_mul_f32 v[148:149], v[20:21], v[148:149]              // 000000006120: D3B14094 18032914
	v_pk_mul_f32 v[150:151], v[20:21], v[150:151]              // 000000006128: D3B14096 18032D14
	v_pk_mul_f32 v[152:153], v[20:21], v[152:153]              // 000000006130: D3B14098 18033114
	v_pk_mul_f32 v[154:155], v[20:21], v[154:155]              // 000000006138: D3B1409A 18033514
	v_pk_mul_f32 v[156:157], v[20:21], v[156:157]              // 000000006140: D3B1409C 18033914
	v_pk_mul_f32 v[158:159], v[20:21], v[158:159]              // 000000006148: D3B1409E 18033D14
	s_cbranch_scc0 label_0B96                                  // 000000006150: BF840001
	s_branch label_07D6                                        // 000000006154: BF82FC40

0000000000006158 <label_0B96>:
	s_add_u32 s40, s38, 31                                     // 000000006158: 80289F26
	s_lshr_b32 s40, s40, 5                                     // 00000000615C: 8F288528
	s_and_b32 s40, 1, s40                                      // 000000006160: 86282881
	s_cmp_lt_i32 s40, 1                                        // 000000006164: BF048128
	s_cbranch_scc0 label_0C1E                                  // 000000006168: BF840083
	s_waitcnt vmcnt(4)                                         // 00000000616C: BF8C0F74
	s_barrier                                                  // 000000006170: BF8A0000
	v_perm_b32 v232, v229, v228, s50                           // 000000006174: D1ED00E8 00CBC9E5
	v_perm_b32 v234, v229, v228, s49                           // 00000000617C: D1ED00EA 00C7C9E5
	v_perm_b32 v233, v231, v230, s50                           // 000000006184: D1ED00E9 00CBCDE7
	v_perm_b32 v235, v231, v230, s49                           // 00000000618C: D1ED00EB 00C7CDE7
	ds_write_b64 v14, v[232:233] offset:17408                  // 000000006194: D89A4400 0000E80E
	ds_write_b64 v14, v[234:235] offset:21568                  // 00000000619C: D89A5440 0000EA0E
	s_waitcnt lgkmcnt(0)                                       // 0000000061A4: BF8CC07F
	s_barrier                                                  // 0000000061A8: BF8A0000
	ds_read_b64 v[192:193], v13 offset:17408                   // 0000000061AC: D8EC4400 C000000D
	ds_read_b64 v[194:195], v13 offset:18432                   // 0000000061B4: D8EC4800 C200000D
	ds_read_b64 v[196:197], v13 offset:19456                   // 0000000061BC: D8EC4C00 C400000D
	ds_read_b64 v[198:199], v13 offset:20480                   // 0000000061C4: D8EC5000 C600000D
	ds_read_b64 v[200:201], v13 offset:17536                   // 0000000061CC: D8EC4480 C800000D
	ds_read_b64 v[202:203], v13 offset:18560                   // 0000000061D4: D8EC4880 CA00000D
	ds_read_b64 v[204:205], v13 offset:19584                   // 0000000061DC: D8EC4C80 CC00000D
	ds_read_b64 v[206:207], v13 offset:20608                   // 0000000061E4: D8EC5080 CE00000D
	ds_read_b64 v[208:209], v13 offset:17664                   // 0000000061EC: D8EC4500 D000000D
	ds_read_b64 v[210:211], v13 offset:18688                   // 0000000061F4: D8EC4900 D200000D
	ds_read_b64 v[212:213], v13 offset:19712                   // 0000000061FC: D8EC4D00 D400000D
	ds_read_b64 v[214:215], v13 offset:20736                   // 000000006204: D8EC5100 D600000D
	ds_read_b64 v[216:217], v13 offset:17792                   // 00000000620C: D8EC4580 D800000D
	ds_read_b64 v[218:219], v13 offset:18816                   // 000000006214: D8EC4980 DA00000D
	ds_read_b64 v[220:221], v13 offset:19840                   // 00000000621C: D8EC4D80 DC00000D
	ds_read_b64 v[222:223], v13 offset:20864                   // 000000006224: D8EC5180 DE00000D
	v_exp_f32_e32 v80, v80                                     // 00000000622C: 7EA04150
	v_exp_f32_e32 v81, v81                                     // 000000006230: 7EA24151
	v_exp_f32_e32 v82, v82                                     // 000000006234: 7EA44152
	v_exp_f32_e32 v83, v83                                     // 000000006238: 7EA64153
	v_exp_f32_e32 v84, v84                                     // 00000000623C: 7EA84154
	v_exp_f32_e32 v85, v85                                     // 000000006240: 7EAA4155
	v_exp_f32_e32 v86, v86                                     // 000000006244: 7EAC4156
	v_exp_f32_e32 v87, v87                                     // 000000006248: 7EAE4157
	v_exp_f32_e32 v88, v88                                     // 00000000624C: 7EB04158
	v_exp_f32_e32 v89, v89                                     // 000000006250: 7EB24159
	v_exp_f32_e32 v90, v90                                     // 000000006254: 7EB4415A
	v_exp_f32_e32 v91, v91                                     // 000000006258: 7EB6415B
	v_exp_f32_e32 v92, v92                                     // 00000000625C: 7EB8415C
	v_exp_f32_e32 v93, v93                                     // 000000006260: 7EBA415D
	v_exp_f32_e32 v94, v94                                     // 000000006264: 7EBC415E
	v_exp_f32_e32 v95, v95                                     // 000000006268: 7EBE415F
	v_mul_f32_e32 v22, v20, v22                                // 00000000626C: 0A2C2D14
	v_pk_add_f32 v[38:39], v[80:81], v[82:83]                  // 000000006270: D3B24026 1802A550
	v_pk_add_f32 v[38:39], v[84:85], v[38:39]                  // 000000006278: D3B24026 18024D54
	v_pk_add_f32 v[38:39], v[86:87], v[38:39]                  // 000000006280: D3B24026 18024D56
	v_pk_add_f32 v[38:39], v[88:89], v[38:39]                  // 000000006288: D3B24026 18024D58
	v_pk_add_f32 v[38:39], v[90:91], v[38:39]                  // 000000006290: D3B24026 18024D5A
	v_pk_add_f32 v[38:39], v[92:93], v[38:39]                  // 000000006298: D3B24026 18024D5C
	v_pk_add_f32 v[38:39], v[94:95], v[38:39]                  // 0000000062A0: D3B24026 18024D5E
	v_add_f32_e32 v38, v38, v39                                // 0000000062A8: 024C4F26
	v_add_f32_e32 v22, v38, v22                                // 0000000062AC: 022C2D26
	v_perm_b32 v80, v81, v80, s49                              // 0000000062B0: D1ED0050 00C6A151
	v_perm_b32 v81, v83, v82, s49                              // 0000000062B8: D1ED0051 00C6A553
	v_perm_b32 v82, v85, v84, s49                              // 0000000062C0: D1ED0052 00C6A955
	v_perm_b32 v83, v87, v86, s49                              // 0000000062C8: D1ED0053 00C6AD57
	v_perm_b32 v84, v89, v88, s49                              // 0000000062D0: D1ED0054 00C6B159
	v_perm_b32 v85, v91, v90, s49                              // 0000000062D8: D1ED0055 00C6B55B
	v_perm_b32 v86, v93, v92, s49                              // 0000000062E0: D1ED0056 00C6B95D
	v_perm_b32 v87, v95, v94, s49                              // 0000000062E8: D1ED0057 00C6BD5F
	s_waitcnt lgkmcnt(0)                                       // 0000000062F0: BF8CC07F
	v_mfma_f32_32x32x8_bf16 v[96:111], v[192:193], v[80:81], v[96:111]// 0000000062F4: D3E00060 0582A1C0
	v_mfma_f32_32x32x8_bf16 v[96:111], v[194:195], v[82:83], v[96:111]// 0000000062FC: D3E00060 0582A5C2
	v_mfma_f32_32x32x8_bf16 v[96:111], v[196:197], v[84:85], v[96:111]// 000000006304: D3E00060 0582A9C4
	v_mfma_f32_32x32x8_bf16 v[96:111], v[198:199], v[86:87], v[96:111]// 00000000630C: D3E00060 0582ADC6
	v_mfma_f32_32x32x8_bf16 v[112:127], v[200:201], v[80:81], v[112:127]// 000000006314: D3E00070 05C2A1C8
	v_mfma_f32_32x32x8_bf16 v[112:127], v[202:203], v[82:83], v[112:127]// 00000000631C: D3E00070 05C2A5CA
	v_mfma_f32_32x32x8_bf16 v[112:127], v[204:205], v[84:85], v[112:127]// 000000006324: D3E00070 05C2A9CC
	v_mfma_f32_32x32x8_bf16 v[112:127], v[206:207], v[86:87], v[112:127]// 00000000632C: D3E00070 05C2ADCE
	v_mfma_f32_32x32x8_bf16 v[128:143], v[208:209], v[80:81], v[128:143]// 000000006334: D3E00080 0602A1D0
	v_mfma_f32_32x32x8_bf16 v[128:143], v[210:211], v[82:83], v[128:143]// 00000000633C: D3E00080 0602A5D2
	v_mfma_f32_32x32x8_bf16 v[128:143], v[212:213], v[84:85], v[128:143]// 000000006344: D3E00080 0602A9D4
	v_mfma_f32_32x32x8_bf16 v[128:143], v[214:215], v[86:87], v[128:143]// 00000000634C: D3E00080 0602ADD6
	v_mfma_f32_32x32x8_bf16 v[144:159], v[216:217], v[80:81], v[144:159]// 000000006354: D3E00090 0642A1D8
	v_mfma_f32_32x32x8_bf16 v[144:159], v[218:219], v[82:83], v[144:159]// 00000000635C: D3E00090 0642A5DA
	v_mfma_f32_32x32x8_bf16 v[144:159], v[220:221], v[84:85], v[144:159]// 000000006364: D3E00090 0642A9DC
	v_mfma_f32_32x32x8_bf16 v[144:159], v[222:223], v[86:87], v[144:159]// 00000000636C: D3E00090 0642ADDE
	s_branch label_0CA0                                        // 000000006374: BF820082

0000000000006378 <label_0C1E>:
	s_waitcnt vmcnt(4)                                         // 000000006378: BF8C0F74
	s_barrier                                                  // 00000000637C: BF8A0000
	v_perm_b32 v232, v225, v224, s50                           // 000000006380: D1ED00E8 00CBC1E1
	v_perm_b32 v234, v225, v224, s49                           // 000000006388: D1ED00EA 00C7C1E1
	v_perm_b32 v233, v227, v226, s50                           // 000000006390: D1ED00E9 00CBC5E3
	v_perm_b32 v235, v227, v226, s49                           // 000000006398: D1ED00EB 00C7C5E3
	ds_write_b64 v14, v[232:233] offset:17408                  // 0000000063A0: D89A4400 0000E80E
	ds_write_b64 v14, v[234:235] offset:21568                  // 0000000063A8: D89A5440 0000EA0E
	s_waitcnt lgkmcnt(0)                                       // 0000000063B0: BF8CC07F
	s_barrier                                                  // 0000000063B4: BF8A0000
	ds_read_b64 v[192:193], v13 offset:17408                   // 0000000063B8: D8EC4400 C000000D
	ds_read_b64 v[194:195], v13 offset:18432                   // 0000000063C0: D8EC4800 C200000D
	ds_read_b64 v[196:197], v13 offset:19456                   // 0000000063C8: D8EC4C00 C400000D
	ds_read_b64 v[198:199], v13 offset:20480                   // 0000000063D0: D8EC5000 C600000D
	ds_read_b64 v[200:201], v13 offset:17536                   // 0000000063D8: D8EC4480 C800000D
	ds_read_b64 v[202:203], v13 offset:18560                   // 0000000063E0: D8EC4880 CA00000D
	ds_read_b64 v[204:205], v13 offset:19584                   // 0000000063E8: D8EC4C80 CC00000D
	ds_read_b64 v[206:207], v13 offset:20608                   // 0000000063F0: D8EC5080 CE00000D
	ds_read_b64 v[208:209], v13 offset:17664                   // 0000000063F8: D8EC4500 D000000D
	ds_read_b64 v[210:211], v13 offset:18688                   // 000000006400: D8EC4900 D200000D
	ds_read_b64 v[212:213], v13 offset:19712                   // 000000006408: D8EC4D00 D400000D
	ds_read_b64 v[214:215], v13 offset:20736                   // 000000006410: D8EC5100 D600000D
	ds_read_b64 v[216:217], v13 offset:17792                   // 000000006418: D8EC4580 D800000D
	ds_read_b64 v[218:219], v13 offset:18816                   // 000000006420: D8EC4980 DA00000D
	ds_read_b64 v[220:221], v13 offset:19840                   // 000000006428: D8EC4D80 DC00000D
	ds_read_b64 v[222:223], v13 offset:20864                   // 000000006430: D8EC5180 DE00000D
	v_exp_f32_e32 v64, v64                                     // 000000006438: 7E804140
	v_exp_f32_e32 v65, v65                                     // 00000000643C: 7E824141
	v_exp_f32_e32 v66, v66                                     // 000000006440: 7E844142
	v_exp_f32_e32 v67, v67                                     // 000000006444: 7E864143
	v_exp_f32_e32 v68, v68                                     // 000000006448: 7E884144
	v_exp_f32_e32 v69, v69                                     // 00000000644C: 7E8A4145
	v_exp_f32_e32 v70, v70                                     // 000000006450: 7E8C4146
	v_exp_f32_e32 v71, v71                                     // 000000006454: 7E8E4147
	v_exp_f32_e32 v72, v72                                     // 000000006458: 7E904148
	v_exp_f32_e32 v73, v73                                     // 00000000645C: 7E924149
	v_exp_f32_e32 v74, v74                                     // 000000006460: 7E94414A
	v_exp_f32_e32 v75, v75                                     // 000000006464: 7E96414B
	v_exp_f32_e32 v76, v76                                     // 000000006468: 7E98414C
	v_exp_f32_e32 v77, v77                                     // 00000000646C: 7E9A414D
	v_exp_f32_e32 v78, v78                                     // 000000006470: 7E9C414E
	v_exp_f32_e32 v79, v79                                     // 000000006474: 7E9E414F
	v_mul_f32_e32 v22, v20, v22                                // 000000006478: 0A2C2D14
	v_pk_add_f32 v[38:39], v[64:65], v[66:67]                  // 00000000647C: D3B24026 18028540
	v_pk_add_f32 v[38:39], v[68:69], v[38:39]                  // 000000006484: D3B24026 18024D44
	v_pk_add_f32 v[38:39], v[70:71], v[38:39]                  // 00000000648C: D3B24026 18024D46
	v_pk_add_f32 v[38:39], v[72:73], v[38:39]                  // 000000006494: D3B24026 18024D48
	v_pk_add_f32 v[38:39], v[74:75], v[38:39]                  // 00000000649C: D3B24026 18024D4A
	v_pk_add_f32 v[38:39], v[76:77], v[38:39]                  // 0000000064A4: D3B24026 18024D4C
	v_pk_add_f32 v[38:39], v[78:79], v[38:39]                  // 0000000064AC: D3B24026 18024D4E
	v_add_f32_e32 v38, v38, v39                                // 0000000064B4: 024C4F26
	v_add_f32_e32 v22, v38, v22                                // 0000000064B8: 022C2D26
	v_perm_b32 v64, v65, v64, s49                              // 0000000064BC: D1ED0040 00C68141
	v_perm_b32 v65, v67, v66, s49                              // 0000000064C4: D1ED0041 00C68543
	v_perm_b32 v66, v69, v68, s49                              // 0000000064CC: D1ED0042 00C68945
	v_perm_b32 v67, v71, v70, s49                              // 0000000064D4: D1ED0043 00C68D47
	v_perm_b32 v68, v73, v72, s49                              // 0000000064DC: D1ED0044 00C69149
	v_perm_b32 v69, v75, v74, s49                              // 0000000064E4: D1ED0045 00C6954B
	v_perm_b32 v70, v77, v76, s49                              // 0000000064EC: D1ED0046 00C6994D
	v_perm_b32 v71, v79, v78, s49                              // 0000000064F4: D1ED0047 00C69D4F
	s_waitcnt lgkmcnt(0)                                       // 0000000064FC: BF8CC07F
	v_mfma_f32_32x32x8_bf16 v[96:111], v[192:193], v[64:65], v[96:111]// 000000006500: D3E00060 058281C0
	v_mfma_f32_32x32x8_bf16 v[96:111], v[194:195], v[66:67], v[96:111]// 000000006508: D3E00060 058285C2
	v_mfma_f32_32x32x8_bf16 v[96:111], v[196:197], v[68:69], v[96:111]// 000000006510: D3E00060 058289C4
	v_mfma_f32_32x32x8_bf16 v[96:111], v[198:199], v[70:71], v[96:111]// 000000006518: D3E00060 05828DC6
	v_mfma_f32_32x32x8_bf16 v[112:127], v[200:201], v[64:65], v[112:127]// 000000006520: D3E00070 05C281C8
	v_mfma_f32_32x32x8_bf16 v[112:127], v[202:203], v[66:67], v[112:127]// 000000006528: D3E00070 05C285CA
	v_mfma_f32_32x32x8_bf16 v[112:127], v[204:205], v[68:69], v[112:127]// 000000006530: D3E00070 05C289CC
	v_mfma_f32_32x32x8_bf16 v[112:127], v[206:207], v[70:71], v[112:127]// 000000006538: D3E00070 05C28DCE
	v_mfma_f32_32x32x8_bf16 v[128:143], v[208:209], v[64:65], v[128:143]// 000000006540: D3E00080 060281D0
	v_mfma_f32_32x32x8_bf16 v[128:143], v[210:211], v[66:67], v[128:143]// 000000006548: D3E00080 060285D2
	v_mfma_f32_32x32x8_bf16 v[128:143], v[212:213], v[68:69], v[128:143]// 000000006550: D3E00080 060289D4
	v_mfma_f32_32x32x8_bf16 v[128:143], v[214:215], v[70:71], v[128:143]// 000000006558: D3E00080 06028DD6
	v_mfma_f32_32x32x8_bf16 v[144:159], v[216:217], v[64:65], v[144:159]// 000000006560: D3E00090 064281D8
	v_mfma_f32_32x32x8_bf16 v[144:159], v[218:219], v[66:67], v[144:159]// 000000006568: D3E00090 064285DA
	v_mfma_f32_32x32x8_bf16 v[144:159], v[220:221], v[68:69], v[144:159]// 000000006570: D3E00090 064289DC
	v_mfma_f32_32x32x8_bf16 v[144:159], v[222:223], v[70:71], v[144:159]// 000000006578: D3E00090 06428DDE

0000000000006580 <label_0CA0>:
	v_cvt_f32_u32_e32 v16, s62                                 // 000000006580: 7E200C3E
	s_sub_i32 s40, 0, s62                                      // 000000006584: 81A83E80
	v_rcp_iflag_f32_e32 v16, v16                               // 000000006588: 7E204710
	s_nop 0                                                    // 00000000658C: BF800000
	v_mul_f32_e32 v16, 0x4f7ffffe, v16                         // 000000006590: 0A2020FF 4F7FFFFE
	v_cvt_u32_f32_e32 v16, v16                                 // 000000006598: 7E200F10
	v_mul_lo_u32 v17, s40, v16                                 // 00000000659C: D2850011 00022028
	v_mul_hi_u32 v17, v16, v17                                 // 0000000065A4: D2860011 00022310
	v_add_u32_e32 v16, v16, v17                                // 0000000065AC: 68202310
	v_mul_hi_u32 v16, s63, v16                                 // 0000000065B0: D2860010 0002203F
	v_mul_lo_u32 v17, v16, s62                                 // 0000000065B8: D2850011 00007D10
	v_sub_u32_e32 v19, s63, v17                                // 0000000065C0: 6A26223F
	v_add_u32_e32 v18, 1, v16                                  // 0000000065C4: 68242081
	v_cmp_le_u32_e32 vcc, s62, v19                             // 0000000065C8: 7D96263E
	v_subrev_u32_e32 v17, s62, v19                             // 0000000065CC: 6C22263E
	s_nop 0                                                    // 0000000065D0: BF800000
	v_cndmask_b32_e32 v16, v16, v18, vcc                       // 0000000065D4: 00202510
	v_cndmask_b32_e32 v19, v19, v17, vcc                       // 0000000065D8: 00262313
	v_add_u32_e32 v17, 1, v16                                  // 0000000065DC: 68222081
	v_cmp_le_u32_e32 vcc, s62, v19                             // 0000000065E0: 7D96263E
	s_nop 1                                                    // 0000000065E4: BF800001
	v_cndmask_b32_e32 v19, v16, v17, vcc                       // 0000000065E8: 00262310
	s_nop 3                                                    // 0000000065EC: BF800003
	v_readfirstlane_b32 s63, v19                               // 0000000065F0: 7E7E0513
	s_nop 3                                                    // 0000000065F4: BF800003
	s_mul_i32 s63, s63, s83                                    // 0000000065F8: 923F533F
	v_lshrrev_b32_e32 v16, 3, v0                               // 0000000065FC: 20200083
	v_mul_i32_i24_e32 v8, s83, v16                             // 000000006600: 0C102053
	v_and_b32_e32 v16, 7, v0                                   // 000000006604: 26200087
	v_mul_i32_i24_e32 v16, 16, v16                             // 000000006608: 0C202090
	v_add_u32_e32 v8, v16, v8                                  // 00000000660C: 68101110
	s_mul_i32 s40, s5, s83                                     // 000000006610: 92285305
	s_mul_i32 s40, s40, 32                                     // 000000006614: 9228A028
	s_add_u32 s40, s63, s40                                    // 000000006618: 8028283F
	v_add_u32_e32 v8, s40, v8                                  // 00000000661C: 68101028
	s_mul_i32 s40, s83, 8                                      // 000000006620: 92288853
	v_add_u32_e32 v9, s40, v8                                  // 000000006624: 68121028
	v_add_u32_e32 v10, s40, v9                                 // 000000006628: 68141228
	v_add_u32_e32 v11, s40, v10                                // 00000000662C: 68161428
	s_mul_i32 s40, s4, 0x100                                   // 000000006630: 9228FF04 00000100
	v_and_b32_e32 v3, 31, v0                                   // 000000006638: 2606009F
	v_add_u32_e32 v3, s40, v3                                  // 00000000663C: 68060628
	s_mul_i32 s40, s5, 32                                      // 000000006640: 9228A005
	v_add_u32_e32 v3, s40, v3                                  // 000000006644: 68060628
	v_lshlrev_b32_e32 v3, 2, v3                                // 000000006648: 24060682
	ds_permute_b32 v16, v32, v22                               // 00000000664C: D87C0000 10001620
	s_waitcnt lgkmcnt(0)                                       // 000000006654: BF8CC07F
	v_add_f32_e32 v22, v16, v22                                // 000000006658: 022C2D10
	v_mul_f32_e64 v16, v28, s28                                // 00000000665C: D1050010 0000391C
	v_log_f32_e32 v17, v22                                     // 000000006664: 7E224316
	v_cmp_eq_f32_e64 s[40:41], v22, 0                          // 000000006668: D0420028 00010116
	s_nop 1                                                    // 000000006670: BF800001
	v_rcp_f32_e32 v22, v22                                     // 000000006674: 7E2C4516
	s_nop 1                                                    // 000000006678: BF800001
	v_cndmask_b32_e64 v22, v22, 0, s[40:41]                    // 00000000667C: D1000016 00A10116
	v_fma_f32 v2, v17, s45, v16                                // 000000006684: D1CB0002 04405B11
	v_mov_b32_e32 v23, v22                                     // 00000000668C: 7E2E0316
	v_lshrrev_b32_e32 v16, 5, v0                               // 000000006690: 20200085
	v_mul_i32_i24_e32 v35, 0x42, v16                           // 000000006694: 0C4620FF 00000042
	v_and_b32_e32 v16, 31, v0                                  // 00000000669C: 2620009F
	v_mul_i32_i24_e32 v16, 2, v16                              // 0000000066A0: 0C202082
	v_add_u32_e32 v35, v16, v35                                // 0000000066A4: 68464710
	s_mul_i32 s40, s5, 0x420                                   // 0000000066A8: 9228FF05 00000420
	v_add_u32_e32 v35, s40, v35                                // 0000000066B0: 68464628
	v_lshlrev_b32_e32 v35, 2, v35                              // 0000000066B4: 24464682
	v_lshrrev_b32_e32 v16, 3, v0                               // 0000000066B8: 20200083
	v_mul_i32_i24_e32 v34, 2, v16                              // 0000000066BC: 0C442082
	v_and_b32_e32 v16, 7, v0                                   // 0000000066C0: 26200087
	v_mul_i32_i24_e32 v16, 0x84, v16                           // 0000000066C4: 0C2020FF 00000084
	v_add_u32_e32 v34, v16, v34                                // 0000000066CC: 68444510
	s_mul_i32 s40, s5, 0x420                                   // 0000000066D0: 9228FF05 00000420
	v_add_u32_e32 v34, s40, v34                                // 0000000066D8: 68444428
	v_lshlrev_b32_e32 v34, 2, v34                              // 0000000066DC: 24444482
	s_waitcnt vmcnt(0) expcnt(0) lgkmcnt(0)                    // 0000000066E0: BF8C0000
	s_barrier                                                  // 0000000066E4: BF8A0000
	v_pk_mul_f32 v[96:97], v[22:23], v[96:97]                  // 0000000066E8: D3B14060 1802C116
	v_pk_mul_f32 v[98:99], v[22:23], v[98:99]                  // 0000000066F0: D3B14062 1802C516
	v_pk_mul_f32 v[100:101], v[22:23], v[100:101]              // 0000000066F8: D3B14064 1802C916
	v_pk_mul_f32 v[102:103], v[22:23], v[102:103]              // 000000006700: D3B14066 1802CD16
	v_pk_mul_f32 v[104:105], v[22:23], v[104:105]              // 000000006708: D3B14068 1802D116
	v_pk_mul_f32 v[106:107], v[22:23], v[106:107]              // 000000006710: D3B1406A 1802D516
	v_pk_mul_f32 v[108:109], v[22:23], v[108:109]              // 000000006718: D3B1406C 1802D916
	v_pk_mul_f32 v[110:111], v[22:23], v[110:111]              // 000000006720: D3B1406E 1802DD16
	v_pk_mul_f32 v[112:113], v[22:23], v[112:113]              // 000000006728: D3B14070 1802E116
	v_pk_mul_f32 v[114:115], v[22:23], v[114:115]              // 000000006730: D3B14072 1802E516
	v_pk_mul_f32 v[116:117], v[22:23], v[116:117]              // 000000006738: D3B14074 1802E916
	v_pk_mul_f32 v[118:119], v[22:23], v[118:119]              // 000000006740: D3B14076 1802ED16
	v_pk_mul_f32 v[120:121], v[22:23], v[120:121]              // 000000006748: D3B14078 1802F116
	v_pk_mul_f32 v[122:123], v[22:23], v[122:123]              // 000000006750: D3B1407A 1802F516
	v_pk_mul_f32 v[124:125], v[22:23], v[124:125]              // 000000006758: D3B1407C 1802F916
	v_pk_mul_f32 v[126:127], v[22:23], v[126:127]              // 000000006760: D3B1407E 1802FD16
	v_perm_b32 v96, v97, v96, s49                              // 000000006768: D1ED0060 00C6C161
	v_perm_b32 v97, v99, v98, s49                              // 000000006770: D1ED0061 00C6C563
	v_perm_b32 v98, v101, v100, s49                            // 000000006778: D1ED0062 00C6C965
	v_perm_b32 v99, v103, v102, s49                            // 000000006780: D1ED0063 00C6CD67
	v_perm_b32 v100, v105, v104, s49                           // 000000006788: D1ED0064 00C6D169
	v_perm_b32 v101, v107, v106, s49                           // 000000006790: D1ED0065 00C6D56B
	v_perm_b32 v102, v109, v108, s49                           // 000000006798: D1ED0066 00C6D96D
	v_perm_b32 v103, v111, v110, s49                           // 0000000067A0: D1ED0067 00C6DD6F
	v_perm_b32 v104, v113, v112, s49                           // 0000000067A8: D1ED0068 00C6E171
	v_perm_b32 v105, v115, v114, s49                           // 0000000067B0: D1ED0069 00C6E573
	v_perm_b32 v106, v117, v116, s49                           // 0000000067B8: D1ED006A 00C6E975
	v_perm_b32 v107, v119, v118, s49                           // 0000000067C0: D1ED006B 00C6ED77
	v_perm_b32 v108, v121, v120, s49                           // 0000000067C8: D1ED006C 00C6F179
	v_perm_b32 v109, v123, v122, s49                           // 0000000067D0: D1ED006D 00C6F57B
	v_perm_b32 v110, v125, v124, s49                           // 0000000067D8: D1ED006E 00C6F97D
	v_perm_b32 v111, v127, v126, s49                           // 0000000067E0: D1ED006F 00C6FD7F
	ds_write_b64 v35, v[96:97]                                 // 0000000067E8: D89A0000 00006023
	ds_write_b64 v35, v[98:99] offset:528                      // 0000000067F0: D89A0210 00006223
	ds_write_b64 v35, v[100:101] offset:1056                   // 0000000067F8: D89A0420 00006423
	ds_write_b64 v35, v[102:103] offset:1584                   // 000000006800: D89A0630 00006623
	ds_write_b64 v35, v[104:105] offset:2112                   // 000000006808: D89A0840 00006823
	ds_write_b64 v35, v[106:107] offset:2640                   // 000000006810: D89A0A50 00006A23
	ds_write_b64 v35, v[108:109] offset:3168                   // 000000006818: D89A0C60 00006C23
	ds_write_b64 v35, v[110:111] offset:3696                   // 000000006820: D89A0E70 00006E23
	s_waitcnt vmcnt(0) expcnt(0) lgkmcnt(0)                    // 000000006828: BF8C0000
	ds_read_b64 v[96:97], v34                                  // 00000000682C: D8EC0000 60000022
	ds_read_b64 v[98:99], v34 offset:264                       // 000000006834: D8EC0108 62000022
	ds_read_b64 v[100:101], v34 offset:64                      // 00000000683C: D8EC0040 64000022
	ds_read_b64 v[102:103], v34 offset:328                     // 000000006844: D8EC0148 66000022
	ds_read_b64 v[104:105], v34 offset:128                     // 00000000684C: D8EC0080 68000022
	ds_read_b64 v[106:107], v34 offset:392                     // 000000006854: D8EC0188 6A000022
	ds_read_b64 v[108:109], v34 offset:192                     // 00000000685C: D8EC00C0 6C000022
	ds_read_b64 v[110:111], v34 offset:456                     // 000000006864: D8EC01C8 6E000022
	s_waitcnt vmcnt(0) expcnt(0) lgkmcnt(0)                    // 00000000686C: BF8C0000
	buffer_store_dwordx4 v[96:99], v8, s[20:23], 0 offen       // 000000006870: E07C1000 80056008
	buffer_store_dwordx4 v[100:103], v9, s[20:23], 0 offen     // 000000006878: E07C1000 80056409
	buffer_store_dwordx4 v[104:107], v10, s[20:23], 0 offen    // 000000006880: E07C1000 8005680A
	buffer_store_dwordx4 v[108:111], v11, s[20:23], 0 offen    // 000000006888: E07C1000 80056C0B
	v_pk_mul_f32 v[128:129], v[22:23], v[128:129]              // 000000006890: D3B14080 18030116
	v_pk_mul_f32 v[130:131], v[22:23], v[130:131]              // 000000006898: D3B14082 18030516
	v_pk_mul_f32 v[132:133], v[22:23], v[132:133]              // 0000000068A0: D3B14084 18030916
	v_pk_mul_f32 v[134:135], v[22:23], v[134:135]              // 0000000068A8: D3B14086 18030D16
	v_pk_mul_f32 v[136:137], v[22:23], v[136:137]              // 0000000068B0: D3B14088 18031116
	v_pk_mul_f32 v[138:139], v[22:23], v[138:139]              // 0000000068B8: D3B1408A 18031516
	v_pk_mul_f32 v[140:141], v[22:23], v[140:141]              // 0000000068C0: D3B1408C 18031916
	v_pk_mul_f32 v[142:143], v[22:23], v[142:143]              // 0000000068C8: D3B1408E 18031D16
	v_pk_mul_f32 v[144:145], v[22:23], v[144:145]              // 0000000068D0: D3B14090 18032116
	v_pk_mul_f32 v[146:147], v[22:23], v[146:147]              // 0000000068D8: D3B14092 18032516
	v_pk_mul_f32 v[148:149], v[22:23], v[148:149]              // 0000000068E0: D3B14094 18032916
	v_pk_mul_f32 v[150:151], v[22:23], v[150:151]              // 0000000068E8: D3B14096 18032D16
	v_pk_mul_f32 v[152:153], v[22:23], v[152:153]              // 0000000068F0: D3B14098 18033116
	v_pk_mul_f32 v[154:155], v[22:23], v[154:155]              // 0000000068F8: D3B1409A 18033516
	v_pk_mul_f32 v[156:157], v[22:23], v[156:157]              // 000000006900: D3B1409C 18033916
	v_pk_mul_f32 v[158:159], v[22:23], v[158:159]              // 000000006908: D3B1409E 18033D16
	v_perm_b32 v128, v129, v128, s49                           // 000000006910: D1ED0080 00C70181
	v_perm_b32 v129, v131, v130, s49                           // 000000006918: D1ED0081 00C70583
	v_perm_b32 v130, v133, v132, s49                           // 000000006920: D1ED0082 00C70985
	v_perm_b32 v131, v135, v134, s49                           // 000000006928: D1ED0083 00C70D87
	v_perm_b32 v132, v137, v136, s49                           // 000000006930: D1ED0084 00C71189
	v_perm_b32 v133, v139, v138, s49                           // 000000006938: D1ED0085 00C7158B
	v_perm_b32 v134, v141, v140, s49                           // 000000006940: D1ED0086 00C7198D
	v_perm_b32 v135, v143, v142, s49                           // 000000006948: D1ED0087 00C71D8F
	v_perm_b32 v136, v145, v144, s49                           // 000000006950: D1ED0088 00C72191
	v_perm_b32 v137, v147, v146, s49                           // 000000006958: D1ED0089 00C72593
	v_perm_b32 v138, v149, v148, s49                           // 000000006960: D1ED008A 00C72995
	v_perm_b32 v139, v151, v150, s49                           // 000000006968: D1ED008B 00C72D97
	v_perm_b32 v140, v153, v152, s49                           // 000000006970: D1ED008C 00C73199
	v_perm_b32 v141, v155, v154, s49                           // 000000006978: D1ED008D 00C7359B
	v_perm_b32 v142, v157, v156, s49                           // 000000006980: D1ED008E 00C7399D
	v_perm_b32 v143, v159, v158, s49                           // 000000006988: D1ED008F 00C73D9F
	ds_write_b64 v35, v[128:129]                               // 000000006990: D89A0000 00008023
	ds_write_b64 v35, v[130:131] offset:528                    // 000000006998: D89A0210 00008223
	ds_write_b64 v35, v[132:133] offset:1056                   // 0000000069A0: D89A0420 00008423
	ds_write_b64 v35, v[134:135] offset:1584                   // 0000000069A8: D89A0630 00008623
	ds_write_b64 v35, v[136:137] offset:2112                   // 0000000069B0: D89A0840 00008823
	ds_write_b64 v35, v[138:139] offset:2640                   // 0000000069B8: D89A0A50 00008A23
	ds_write_b64 v35, v[140:141] offset:3168                   // 0000000069C0: D89A0C60 00008C23
	ds_write_b64 v35, v[142:143] offset:3696                   // 0000000069C8: D89A0E70 00008E23
	s_waitcnt vmcnt(0) expcnt(0) lgkmcnt(0)                    // 0000000069D0: BF8C0000
	ds_read_b64 v[128:129], v34                                // 0000000069D4: D8EC0000 80000022
	ds_read_b64 v[130:131], v34 offset:264                     // 0000000069DC: D8EC0108 82000022
	ds_read_b64 v[132:133], v34 offset:64                      // 0000000069E4: D8EC0040 84000022
	ds_read_b64 v[134:135], v34 offset:328                     // 0000000069EC: D8EC0148 86000022
	ds_read_b64 v[136:137], v34 offset:128                     // 0000000069F4: D8EC0080 88000022
	ds_read_b64 v[138:139], v34 offset:392                     // 0000000069FC: D8EC0188 8A000022
	ds_read_b64 v[140:141], v34 offset:192                     // 000000006A04: D8EC00C0 8C000022
	ds_read_b64 v[142:143], v34 offset:456                     // 000000006A0C: D8EC01C8 8E000022
	s_waitcnt vmcnt(0) expcnt(0) lgkmcnt(0)                    // 000000006A14: BF8C0000
	buffer_store_dwordx4 v[128:131], v8, s[20:23], 0 offen offset:128// 000000006A18: E07C1080 80058008
	buffer_store_dwordx4 v[132:135], v9, s[20:23], 0 offen offset:128// 000000006A20: E07C1080 80058409
	buffer_store_dwordx4 v[136:139], v10, s[20:23], 0 offen offset:128// 000000006A28: E07C1080 8005880A
	buffer_store_dwordx4 v[140:143], v11, s[20:23], 0 offen offset:128// 000000006A30: E07C1080 80058C0B
	s_cmp_eq_u32 s37, 0                                        // 000000006A38: BF068025
	s_cbranch_scc1 label_0DD6                                  // 000000006A3C: BF850006
	v_cmp_ge_f32_e64 s[40:41], v2, v31                         // 000000006A40: D0460028 00023F02
	v_cndmask_b32_e64 v2, v31, v2, s[40:41]                    // 000000006A48: D1000002 00A2051F
	buffer_store_dword v2, v3, s[24:27], 0 offen               // 000000006A50: E0701000 80060203

0000000000006a58 <label_0DD6>:
	s_waitcnt vmcnt(0) expcnt(0) lgkmcnt(0)                    // 000000006A58: BF8C0000
	s_barrier                                                  // 000000006A5C: BF8A0000
	s_addk_i32 s36, 0x1                                        // 000000006A60: B7240001
	s_add_u32 s40, s30, 0xff                                   // 000000006A64: 8028FF1E 000000FF
	s_lshr_b32 s40, s40, 8                                     // 000000006A6C: 8F288828
	s_cmp_lt_u32 s40, 2                                        // 000000006A70: BF0A8228
	s_cselect_b32 s36, 2, s36                                  // 000000006A74: 85242482
	s_add_u32 s41, s30, 0xff                                   // 000000006A78: 8029FF1E 000000FF
	s_lshr_b32 s40, s41, 8                                     // 000000006A80: 8F288829
	s_sub_u32 s40, s40, 1                                      // 000000006A84: 80A88128
	s_sub_u32 s4, s40, s4                                      // 000000006A88: 80840428
	s_mul_i32 s43, 32, s61                                     // 000000006A8C: 922B3DA0
	s_mul_i32 s44, 32, s80                                     // 000000006A90: 922C50A0
	s_and_b32 s42, 1, s34                                      // 000000006A94: 862A2281
	s_cmp_lt_i32 s42, 1                                        // 000000006A98: BF04812A
	s_cbranch_scc1 label_0DFB                                  // 000000006A9C: BF850013
	s_lshl_b32 s40, s4, 3                                      // 000000006AA0: 8E288304
	s_add_u32 s40, s40, 7                                      // 000000006AA4: 80288728
	s_sub_i32 s41, s7, s30                                     // 000000006AA8: 81A91E07
	s_addk_i32 s41, 0x1f                                       // 000000006AAC: B729001F
	s_ashr_i32 s41, s41, 5                                     // 000000006AB0: 90298529
	s_add_i32 s40, s40, s41                                    // 000000006AB4: 81282928
	s_sub_u32 s41, s7, 1                                       // 000000006AB8: 80A98107
	s_lshr_b32 s41, s41, 5                                     // 000000006ABC: 8F298529
	s_cmp_lt_i32 s40, s41                                      // 000000006AC0: BF042928
	s_cselect_b32 s40, s40, s41                                // 000000006AC4: 85282928
	s_cmp_lt_i32 s40, 0                                        // 000000006AC8: BF048028
	s_cselect_b32 s40, 0, s40                                  // 000000006ACC: 85282880
	s_mul_i32 s60, s40, s43                                    // 000000006AD0: 923C2B28
	s_mul_i32 s35, s40, s44                                    // 000000006AD4: 92232C28
	s_mul_i32 s52, s40, 32                                     // 000000006AD8: 9234A028
	s_sub_i32 s44, 0, s44                                      // 000000006ADC: 81AC2C80
	s_sub_i32 s43, 0, s43                                      // 000000006AE0: 81AB2B80
	s_sub_i32 s53, 0, s53                                      // 000000006AE4: 81B53580
	s_branch label_0DFF                                        // 000000006AE8: BF820004

0000000000006aec <label_0DFB>:
	s_mov_b32 s60, 0                                           // 000000006AEC: BEBC0080
	s_mov_b32 s35, 0                                           // 000000006AF0: BEA30080
	s_mov_b32 s52, 0                                           // 000000006AF4: BEB40080
	s_mov_b32 s53, 32                                          // 000000006AF8: BEB500A0

0000000000006afc <label_0DFF>:
	s_cmp_lt_i32 s36, 2                                        // 000000006AFC: BF048224
	s_cbranch_scc1 label_0117                                  // 000000006B00: BF85F316

0000000000006b04 <label_0E01>:
	s_waitcnt vmcnt(0) expcnt(0) lgkmcnt(0)                    // 000000006B04: BF8C0000
	s_endpgm                                                   // 000000006B08: BF810000
